;; amdgpu-corpus repo=ROCm/rocFFT kind=compiled arch=gfx1201 opt=O3
	.text
	.amdgcn_target "amdgcn-amd-amdhsa--gfx1201"
	.amdhsa_code_object_version 6
	.protected	fft_rtc_fwd_len864_factors_3_6_16_3_wgs_54_tpt_54_halfLds_dp_op_CI_CI_sbrr_dirReg ; -- Begin function fft_rtc_fwd_len864_factors_3_6_16_3_wgs_54_tpt_54_halfLds_dp_op_CI_CI_sbrr_dirReg
	.globl	fft_rtc_fwd_len864_factors_3_6_16_3_wgs_54_tpt_54_halfLds_dp_op_CI_CI_sbrr_dirReg
	.p2align	8
	.type	fft_rtc_fwd_len864_factors_3_6_16_3_wgs_54_tpt_54_halfLds_dp_op_CI_CI_sbrr_dirReg,@function
fft_rtc_fwd_len864_factors_3_6_16_3_wgs_54_tpt_54_halfLds_dp_op_CI_CI_sbrr_dirReg: ; @fft_rtc_fwd_len864_factors_3_6_16_3_wgs_54_tpt_54_halfLds_dp_op_CI_CI_sbrr_dirReg
; %bb.0:
	s_clause 0x2
	s_load_b128 s[12:15], s[0:1], 0x18
	s_load_b128 s[4:7], s[0:1], 0x0
	;; [unrolled: 1-line block ×3, first 2 shown]
	v_mul_u32_u24_e32 v1, 0x4be, v0
	v_mov_b32_e32 v4, 0
	v_mov_b32_e32 v5, 0
	s_wait_kmcnt 0x0
	s_load_b64 s[18:19], s[12:13], 0x0
	s_load_b64 s[16:17], s[14:15], 0x0
	v_lshrrev_b32_e32 v2, 16, v1
	v_mov_b32_e32 v1, 0
	v_cmp_lt_u64_e64 s2, s[6:7], 2
	s_delay_alu instid0(VALU_DEP_2) | instskip(NEXT) | instid1(VALU_DEP_2)
	v_dual_mov_b32 v7, v1 :: v_dual_add_nc_u32 v6, ttmp9, v2
	s_and_b32 vcc_lo, exec_lo, s2
	s_cbranch_vccnz .LBB0_8
; %bb.1:
	s_load_b64 s[2:3], s[0:1], 0x10
	v_mov_b32_e32 v4, 0
	v_mov_b32_e32 v5, 0
	s_add_nc_u64 s[20:21], s[14:15], 8
	s_add_nc_u64 s[22:23], s[12:13], 8
	s_mov_b64 s[24:25], 1
	s_delay_alu instid0(VALU_DEP_1)
	v_dual_mov_b32 v101, v5 :: v_dual_mov_b32 v100, v4
	s_wait_kmcnt 0x0
	s_add_nc_u64 s[26:27], s[2:3], 8
	s_mov_b32 s3, 0
.LBB0_2:                                ; =>This Inner Loop Header: Depth=1
	s_load_b64 s[28:29], s[26:27], 0x0
                                        ; implicit-def: $vgpr102_vgpr103
	s_mov_b32 s2, exec_lo
	s_wait_kmcnt 0x0
	v_or_b32_e32 v2, s29, v7
	s_delay_alu instid0(VALU_DEP_1)
	v_cmpx_ne_u64_e32 0, v[1:2]
	s_wait_alu 0xfffe
	s_xor_b32 s30, exec_lo, s2
	s_cbranch_execz .LBB0_4
; %bb.3:                                ;   in Loop: Header=BB0_2 Depth=1
	s_cvt_f32_u32 s2, s28
	s_cvt_f32_u32 s31, s29
	s_sub_nc_u64 s[36:37], 0, s[28:29]
	s_wait_alu 0xfffe
	s_delay_alu instid0(SALU_CYCLE_1) | instskip(SKIP_1) | instid1(SALU_CYCLE_2)
	s_fmamk_f32 s2, s31, 0x4f800000, s2
	s_wait_alu 0xfffe
	v_s_rcp_f32 s2, s2
	s_delay_alu instid0(TRANS32_DEP_1) | instskip(SKIP_1) | instid1(SALU_CYCLE_2)
	s_mul_f32 s2, s2, 0x5f7ffffc
	s_wait_alu 0xfffe
	s_mul_f32 s31, s2, 0x2f800000
	s_wait_alu 0xfffe
	s_delay_alu instid0(SALU_CYCLE_2) | instskip(SKIP_1) | instid1(SALU_CYCLE_2)
	s_trunc_f32 s31, s31
	s_wait_alu 0xfffe
	s_fmamk_f32 s2, s31, 0xcf800000, s2
	s_cvt_u32_f32 s35, s31
	s_wait_alu 0xfffe
	s_delay_alu instid0(SALU_CYCLE_1) | instskip(SKIP_1) | instid1(SALU_CYCLE_2)
	s_cvt_u32_f32 s34, s2
	s_wait_alu 0xfffe
	s_mul_u64 s[38:39], s[36:37], s[34:35]
	s_wait_alu 0xfffe
	s_mul_hi_u32 s41, s34, s39
	s_mul_i32 s40, s34, s39
	s_mul_hi_u32 s2, s34, s38
	s_mul_i32 s33, s35, s38
	s_wait_alu 0xfffe
	s_add_nc_u64 s[40:41], s[2:3], s[40:41]
	s_mul_hi_u32 s31, s35, s38
	s_mul_hi_u32 s42, s35, s39
	s_add_co_u32 s2, s40, s33
	s_wait_alu 0xfffe
	s_add_co_ci_u32 s2, s41, s31
	s_mul_i32 s38, s35, s39
	s_add_co_ci_u32 s39, s42, 0
	s_wait_alu 0xfffe
	s_add_nc_u64 s[38:39], s[2:3], s[38:39]
	s_wait_alu 0xfffe
	v_add_co_u32 v2, s2, s34, s38
	s_delay_alu instid0(VALU_DEP_1) | instskip(SKIP_1) | instid1(VALU_DEP_1)
	s_cmp_lg_u32 s2, 0
	s_add_co_ci_u32 s35, s35, s39
	v_readfirstlane_b32 s34, v2
	s_wait_alu 0xfffe
	s_delay_alu instid0(VALU_DEP_1)
	s_mul_u64 s[36:37], s[36:37], s[34:35]
	s_wait_alu 0xfffe
	s_mul_hi_u32 s39, s34, s37
	s_mul_i32 s38, s34, s37
	s_mul_hi_u32 s2, s34, s36
	s_mul_i32 s33, s35, s36
	s_wait_alu 0xfffe
	s_add_nc_u64 s[38:39], s[2:3], s[38:39]
	s_mul_hi_u32 s31, s35, s36
	s_mul_hi_u32 s34, s35, s37
	s_wait_alu 0xfffe
	s_add_co_u32 s2, s38, s33
	s_add_co_ci_u32 s2, s39, s31
	s_mul_i32 s36, s35, s37
	s_add_co_ci_u32 s37, s34, 0
	s_wait_alu 0xfffe
	s_add_nc_u64 s[36:37], s[2:3], s[36:37]
	s_wait_alu 0xfffe
	v_add_co_u32 v8, s2, v2, s36
	s_delay_alu instid0(VALU_DEP_1) | instskip(SKIP_1) | instid1(VALU_DEP_1)
	s_cmp_lg_u32 s2, 0
	s_add_co_ci_u32 s2, s35, s37
	v_mul_hi_u32 v12, v6, v8
	s_wait_alu 0xfffe
	v_mad_co_u64_u32 v[2:3], null, v6, s2, 0
	v_mad_co_u64_u32 v[8:9], null, v7, v8, 0
	;; [unrolled: 1-line block ×3, first 2 shown]
	s_delay_alu instid0(VALU_DEP_3) | instskip(SKIP_1) | instid1(VALU_DEP_4)
	v_add_co_u32 v2, vcc_lo, v12, v2
	s_wait_alu 0xfffd
	v_add_co_ci_u32_e32 v3, vcc_lo, 0, v3, vcc_lo
	s_delay_alu instid0(VALU_DEP_2) | instskip(SKIP_1) | instid1(VALU_DEP_2)
	v_add_co_u32 v2, vcc_lo, v2, v8
	s_wait_alu 0xfffd
	v_add_co_ci_u32_e32 v2, vcc_lo, v3, v9, vcc_lo
	s_wait_alu 0xfffd
	v_add_co_ci_u32_e32 v3, vcc_lo, 0, v11, vcc_lo
	s_delay_alu instid0(VALU_DEP_2) | instskip(SKIP_1) | instid1(VALU_DEP_2)
	v_add_co_u32 v8, vcc_lo, v2, v10
	s_wait_alu 0xfffd
	v_add_co_ci_u32_e32 v9, vcc_lo, 0, v3, vcc_lo
	s_delay_alu instid0(VALU_DEP_2) | instskip(SKIP_1) | instid1(VALU_DEP_3)
	v_mul_lo_u32 v10, s29, v8
	v_mad_co_u64_u32 v[2:3], null, s28, v8, 0
	v_mul_lo_u32 v11, s28, v9
	s_delay_alu instid0(VALU_DEP_2) | instskip(NEXT) | instid1(VALU_DEP_2)
	v_sub_co_u32 v2, vcc_lo, v6, v2
	v_add3_u32 v3, v3, v11, v10
	s_delay_alu instid0(VALU_DEP_1) | instskip(SKIP_1) | instid1(VALU_DEP_1)
	v_sub_nc_u32_e32 v10, v7, v3
	s_wait_alu 0xfffd
	v_subrev_co_ci_u32_e64 v10, s2, s29, v10, vcc_lo
	v_add_co_u32 v11, s2, v8, 2
	s_wait_alu 0xf1ff
	v_add_co_ci_u32_e64 v12, s2, 0, v9, s2
	v_sub_co_u32 v13, s2, v2, s28
	v_sub_co_ci_u32_e32 v3, vcc_lo, v7, v3, vcc_lo
	s_wait_alu 0xf1ff
	v_subrev_co_ci_u32_e64 v10, s2, 0, v10, s2
	s_delay_alu instid0(VALU_DEP_3) | instskip(NEXT) | instid1(VALU_DEP_3)
	v_cmp_le_u32_e32 vcc_lo, s28, v13
	v_cmp_eq_u32_e64 s2, s29, v3
	s_wait_alu 0xfffd
	v_cndmask_b32_e64 v13, 0, -1, vcc_lo
	v_cmp_le_u32_e32 vcc_lo, s29, v10
	s_wait_alu 0xfffd
	v_cndmask_b32_e64 v14, 0, -1, vcc_lo
	v_cmp_le_u32_e32 vcc_lo, s28, v2
	;; [unrolled: 3-line block ×3, first 2 shown]
	s_wait_alu 0xfffd
	v_cndmask_b32_e64 v15, 0, -1, vcc_lo
	v_cmp_eq_u32_e32 vcc_lo, s29, v10
	s_wait_alu 0xf1ff
	s_delay_alu instid0(VALU_DEP_2)
	v_cndmask_b32_e64 v2, v15, v2, s2
	s_wait_alu 0xfffd
	v_cndmask_b32_e32 v10, v14, v13, vcc_lo
	v_add_co_u32 v13, vcc_lo, v8, 1
	s_wait_alu 0xfffd
	v_add_co_ci_u32_e32 v14, vcc_lo, 0, v9, vcc_lo
	s_delay_alu instid0(VALU_DEP_3) | instskip(SKIP_1) | instid1(VALU_DEP_2)
	v_cmp_ne_u32_e32 vcc_lo, 0, v10
	s_wait_alu 0xfffd
	v_dual_cndmask_b32 v3, v14, v12 :: v_dual_cndmask_b32 v10, v13, v11
	v_cmp_ne_u32_e32 vcc_lo, 0, v2
	s_wait_alu 0xfffd
	s_delay_alu instid0(VALU_DEP_2)
	v_dual_cndmask_b32 v103, v9, v3 :: v_dual_cndmask_b32 v102, v8, v10
.LBB0_4:                                ;   in Loop: Header=BB0_2 Depth=1
	s_wait_alu 0xfffe
	s_and_not1_saveexec_b32 s2, s30
	s_cbranch_execz .LBB0_6
; %bb.5:                                ;   in Loop: Header=BB0_2 Depth=1
	v_cvt_f32_u32_e32 v2, s28
	s_sub_co_i32 s30, 0, s28
	v_mov_b32_e32 v103, v1
	s_delay_alu instid0(VALU_DEP_2) | instskip(NEXT) | instid1(TRANS32_DEP_1)
	v_rcp_iflag_f32_e32 v2, v2
	v_mul_f32_e32 v2, 0x4f7ffffe, v2
	s_delay_alu instid0(VALU_DEP_1) | instskip(SKIP_1) | instid1(VALU_DEP_1)
	v_cvt_u32_f32_e32 v2, v2
	s_wait_alu 0xfffe
	v_mul_lo_u32 v3, s30, v2
	s_delay_alu instid0(VALU_DEP_1) | instskip(NEXT) | instid1(VALU_DEP_1)
	v_mul_hi_u32 v3, v2, v3
	v_add_nc_u32_e32 v2, v2, v3
	s_delay_alu instid0(VALU_DEP_1) | instskip(NEXT) | instid1(VALU_DEP_1)
	v_mul_hi_u32 v2, v6, v2
	v_mul_lo_u32 v3, v2, s28
	v_add_nc_u32_e32 v8, 1, v2
	s_delay_alu instid0(VALU_DEP_2) | instskip(NEXT) | instid1(VALU_DEP_1)
	v_sub_nc_u32_e32 v3, v6, v3
	v_subrev_nc_u32_e32 v9, s28, v3
	v_cmp_le_u32_e32 vcc_lo, s28, v3
	s_wait_alu 0xfffd
	s_delay_alu instid0(VALU_DEP_2) | instskip(NEXT) | instid1(VALU_DEP_1)
	v_dual_cndmask_b32 v3, v3, v9 :: v_dual_cndmask_b32 v2, v2, v8
	v_cmp_le_u32_e32 vcc_lo, s28, v3
	s_delay_alu instid0(VALU_DEP_2) | instskip(SKIP_1) | instid1(VALU_DEP_1)
	v_add_nc_u32_e32 v8, 1, v2
	s_wait_alu 0xfffd
	v_cndmask_b32_e32 v102, v2, v8, vcc_lo
.LBB0_6:                                ;   in Loop: Header=BB0_2 Depth=1
	s_wait_alu 0xfffe
	s_or_b32 exec_lo, exec_lo, s2
	v_mul_lo_u32 v8, v103, s28
	s_delay_alu instid0(VALU_DEP_2)
	v_mul_lo_u32 v9, v102, s29
	s_load_b64 s[30:31], s[22:23], 0x0
	v_mad_co_u64_u32 v[2:3], null, v102, s28, 0
	s_load_b64 s[28:29], s[20:21], 0x0
	s_add_nc_u64 s[24:25], s[24:25], 1
	s_add_nc_u64 s[20:21], s[20:21], 8
	s_wait_alu 0xfffe
	v_cmp_ge_u64_e64 s2, s[24:25], s[6:7]
	s_add_nc_u64 s[22:23], s[22:23], 8
	s_add_nc_u64 s[26:27], s[26:27], 8
	v_add3_u32 v3, v3, v9, v8
	v_sub_co_u32 v2, vcc_lo, v6, v2
	s_wait_alu 0xfffd
	s_delay_alu instid0(VALU_DEP_2) | instskip(SKIP_2) | instid1(VALU_DEP_1)
	v_sub_co_ci_u32_e32 v3, vcc_lo, v7, v3, vcc_lo
	s_and_b32 vcc_lo, exec_lo, s2
	s_wait_kmcnt 0x0
	v_mul_lo_u32 v6, s30, v3
	v_mul_lo_u32 v7, s31, v2
	v_mad_co_u64_u32 v[4:5], null, s30, v2, v[4:5]
	v_mul_lo_u32 v3, s28, v3
	v_mul_lo_u32 v8, s29, v2
	v_mad_co_u64_u32 v[100:101], null, s28, v2, v[100:101]
	s_delay_alu instid0(VALU_DEP_4) | instskip(NEXT) | instid1(VALU_DEP_2)
	v_add3_u32 v5, v7, v5, v6
	v_add3_u32 v101, v8, v101, v3
	s_wait_alu 0xfffe
	s_cbranch_vccnz .LBB0_9
; %bb.7:                                ;   in Loop: Header=BB0_2 Depth=1
	v_dual_mov_b32 v6, v102 :: v_dual_mov_b32 v7, v103
	s_branch .LBB0_2
.LBB0_8:
	v_dual_mov_b32 v101, v5 :: v_dual_mov_b32 v100, v4
	s_delay_alu instid0(VALU_DEP_2)
	v_dual_mov_b32 v103, v7 :: v_dual_mov_b32 v102, v6
.LBB0_9:
	s_load_b64 s[0:1], s[0:1], 0x28
	v_mul_hi_u32 v1, 0x4bda130, v0
	s_lshl_b64 s[6:7], s[6:7], 3
                                        ; implicit-def: $vgpr106
                                        ; implicit-def: $vgpr107
                                        ; implicit-def: $vgpr108
                                        ; implicit-def: $vgpr109
                                        ; implicit-def: $vgpr111
	s_wait_alu 0xfffe
	s_add_nc_u64 s[2:3], s[14:15], s[6:7]
	s_wait_kmcnt 0x0
	v_cmp_gt_u64_e32 vcc_lo, s[0:1], v[102:103]
	v_cmp_le_u64_e64 s0, s[0:1], v[102:103]
	s_delay_alu instid0(VALU_DEP_1)
	s_and_saveexec_b32 s1, s0
	s_wait_alu 0xfffe
	s_xor_b32 s0, exec_lo, s1
; %bb.10:
	v_mul_u32_u24_e32 v1, 54, v1
                                        ; implicit-def: $vgpr4_vgpr5
	s_delay_alu instid0(VALU_DEP_1) | instskip(NEXT) | instid1(VALU_DEP_1)
	v_sub_nc_u32_e32 v106, v0, v1
                                        ; implicit-def: $vgpr1
                                        ; implicit-def: $vgpr0
	v_add_nc_u32_e32 v107, 54, v106
	v_add_nc_u32_e32 v108, 0x6c, v106
	;; [unrolled: 1-line block ×4, first 2 shown]
; %bb.11:
	s_wait_alu 0xfffe
	s_or_saveexec_b32 s1, s0
	s_load_b64 s[2:3], s[2:3], 0x0
                                        ; implicit-def: $vgpr10_vgpr11
                                        ; implicit-def: $vgpr2_vgpr3
                                        ; implicit-def: $vgpr6_vgpr7
                                        ; implicit-def: $vgpr22_vgpr23
                                        ; implicit-def: $vgpr18_vgpr19
                                        ; implicit-def: $vgpr34_vgpr35
                                        ; implicit-def: $vgpr62_vgpr63
                                        ; implicit-def: $vgpr78_vgpr79
                                        ; implicit-def: $vgpr70_vgpr71
                                        ; implicit-def: $vgpr82_vgpr83
                                        ; implicit-def: $vgpr86_vgpr87
                                        ; implicit-def: $vgpr74_vgpr75
                                        ; implicit-def: $vgpr90_vgpr91
                                        ; implicit-def: $vgpr98_vgpr99
                                        ; implicit-def: $vgpr94_vgpr95
                                        ; implicit-def: $vgpr66_vgpr67
                                        ; implicit-def: $vgpr38_vgpr39
                                        ; implicit-def: $vgpr14_vgpr15
	s_xor_b32 exec_lo, exec_lo, s1
	s_cbranch_execz .LBB0_15
; %bb.12:
	s_add_nc_u64 s[6:7], s[12:13], s[6:7]
	v_mul_u32_u24_e32 v1, 54, v1
	s_load_b64 s[6:7], s[6:7], 0x0
	v_lshlrev_b64_e32 v[4:5], 4, v[4:5]
                                        ; implicit-def: $vgpr92_vgpr93
                                        ; implicit-def: $vgpr96_vgpr97
                                        ; implicit-def: $vgpr88_vgpr89
	s_delay_alu instid0(VALU_DEP_2) | instskip(NEXT) | instid1(VALU_DEP_1)
	v_sub_nc_u32_e32 v106, v0, v1
	v_add_nc_u32_e32 v14, 0x120, v106
	v_or_b32_e32 v15, 0x240, v106
	v_mad_co_u64_u32 v[0:1], null, s18, v106, 0
	v_add_nc_u32_e32 v109, 0xa2, v106
	s_delay_alu instid0(VALU_DEP_4) | instskip(NEXT) | instid1(VALU_DEP_4)
	v_mad_co_u64_u32 v[2:3], null, s18, v14, 0
	v_mad_co_u64_u32 v[6:7], null, s18, v15, 0
	v_add_nc_u32_e32 v20, 0x156, v106
	s_delay_alu instid0(VALU_DEP_4)
	v_mad_co_u64_u32 v[40:41], null, s18, v109, 0
	s_wait_kmcnt 0x0
	v_mul_lo_u32 v16, s7, v102
	v_mul_lo_u32 v17, s6, v103
	v_mad_co_u64_u32 v[10:11], null, s6, v102, 0
	v_mad_co_u64_u32 v[12:13], null, s19, v106, v[1:2]
	v_mov_b32_e32 v1, v3
	v_mov_b32_e32 v3, v7
	v_add_nc_u32_e32 v111, 0xd8, v106
	v_add_nc_u32_e32 v51, 0x318, v106
	v_add3_u32 v11, v11, v17, v16
	v_mad_co_u64_u32 v[16:17], null, s18, v20, 0
	v_add_nc_u32_e32 v107, 54, v106
	v_mad_co_u64_u32 v[13:14], null, s19, v14, v[1:2]
	v_mov_b32_e32 v1, v12
	v_mad_co_u64_u32 v[14:15], null, s19, v15, v[3:4]
	s_delay_alu instid0(VALU_DEP_4) | instskip(NEXT) | instid1(VALU_DEP_4)
	v_mad_co_u64_u32 v[8:9], null, s18, v107, 0
	v_dual_mov_b32 v3, v13 :: v_dual_add_nc_u32 v108, 0x6c, v106
	v_mad_co_u64_u32 v[46:47], null, s18, v111, 0
	s_mov_b32 s6, exec_lo
	s_delay_alu instid0(VALU_DEP_2) | instskip(NEXT) | instid1(VALU_DEP_4)
	v_mad_co_u64_u32 v[26:27], null, s18, v108, 0
	v_mov_b32_e32 v7, v9
	v_lshlrev_b64_e32 v[9:10], 4, v[10:11]
	v_lshlrev_b64_e32 v[2:3], 4, v[2:3]
	v_add_nc_u32_e32 v34, 0x2ac, v106
	v_add_nc_u32_e32 v44, 0x1c2, v106
	v_mad_co_u64_u32 v[11:12], null, s19, v107, v[7:8]
	v_add_nc_u32_e32 v12, 0x276, v106
	v_add_co_u32 v9, s0, s8, v9
	s_wait_alu 0xf1ff
	v_add_co_ci_u32_e64 v10, s0, s9, v10, s0
	v_mov_b32_e32 v7, v14
	s_delay_alu instid0(VALU_DEP_3)
	v_add_co_u32 v24, s0, v9, v4
	v_mov_b32_e32 v9, v11
	v_mad_co_u64_u32 v[18:19], null, s18, v12, 0
	s_wait_alu 0xf1ff
	v_add_co_ci_u32_e64 v25, s0, v10, v5, s0
	v_lshlrev_b64_e32 v[4:5], 4, v[6:7]
	v_lshlrev_b64_e32 v[7:8], 4, v[8:9]
	v_mov_b32_e32 v6, v17
	v_mad_co_u64_u32 v[30:31], null, s18, v34, 0
	v_add_nc_u32_e32 v50, 0x1f8, v106
	v_add_nc_u32_e32 v48, 0x2e2, v106
	s_delay_alu instid0(VALU_DEP_4) | instskip(SKIP_2) | instid1(VALU_DEP_2)
	v_mad_co_u64_u32 v[9:10], null, s19, v20, v[6:7]
	v_mov_b32_e32 v6, v19
	v_lshlrev_b64_e32 v[0:1], 4, v[0:1]
	v_mad_co_u64_u32 v[21:22], null, s19, v12, v[6:7]
	s_delay_alu instid0(VALU_DEP_2) | instskip(SKIP_1) | instid1(VALU_DEP_3)
	v_add_co_u32 v0, s0, v24, v0
	s_wait_alu 0xf1ff
	v_add_co_ci_u32_e64 v1, s0, v25, v1, s0
	v_add_co_u32 v2, s0, v24, v2
	s_wait_alu 0xf1ff
	v_add_co_ci_u32_e64 v3, s0, v25, v3, s0
	v_add_co_u32 v4, s0, v24, v4
	v_add_nc_u32_e32 v22, 0x18c, v106
	s_wait_alu 0xf1ff
	v_add_co_ci_u32_e64 v5, s0, v25, v5, s0
	v_add_co_u32 v19, s0, v24, v7
	s_wait_alu 0xf1ff
	v_add_co_ci_u32_e64 v20, s0, v25, v8, s0
	v_mad_co_u64_u32 v[28:29], null, s18, v22, 0
	v_mov_b32_e32 v17, v9
	s_clause 0x3
	global_load_b128 v[12:15], v[0:1], off
	global_load_b128 v[8:11], v[2:3], off
	;; [unrolled: 1-line block ×4, first 2 shown]
	v_dual_mov_b32 v20, v27 :: v_dual_mov_b32 v19, v21
	v_lshlrev_b64_e32 v[16:17], 4, v[16:17]
	s_delay_alu instid0(VALU_DEP_2) | instskip(SKIP_2) | instid1(VALU_DEP_4)
	v_mad_co_u64_u32 v[20:21], null, s19, v108, v[20:21]
	v_mov_b32_e32 v21, v29
	v_mov_b32_e32 v29, v31
	v_add_co_u32 v16, s0, v24, v16
	s_wait_alu 0xf1ff
	v_add_co_ci_u32_e64 v17, s0, v25, v17, s0
	v_mad_co_u64_u32 v[32:33], null, s19, v22, v[21:22]
	v_mov_b32_e32 v27, v20
	v_mad_co_u64_u32 v[33:34], null, s19, v34, v[29:30]
	s_delay_alu instid0(VALU_DEP_2) | instskip(NEXT) | instid1(VALU_DEP_4)
	v_lshlrev_b64_e32 v[26:27], 4, v[26:27]
	v_dual_mov_b32 v29, v32 :: v_dual_mov_b32 v32, v41
	v_lshlrev_b64_e32 v[18:19], 4, v[18:19]
	s_delay_alu instid0(VALU_DEP_4) | instskip(NEXT) | instid1(VALU_DEP_3)
	v_mov_b32_e32 v31, v33
	v_lshlrev_b64_e32 v[28:29], 4, v[28:29]
	s_delay_alu instid0(VALU_DEP_4) | instskip(NEXT) | instid1(VALU_DEP_4)
	v_mad_co_u64_u32 v[41:42], null, s19, v109, v[32:33]
	v_add_co_u32 v18, s0, v24, v18
	s_wait_alu 0xf1ff
	v_add_co_ci_u32_e64 v19, s0, v25, v19, s0
	v_add_co_u32 v26, s0, v24, v26
	s_wait_alu 0xf1ff
	v_add_co_ci_u32_e64 v27, s0, v25, v27, s0
	;; [unrolled: 3-line block ×3, first 2 shown]
	s_clause 0x3
	global_load_b128 v[20:23], v[16:17], off
	global_load_b128 v[16:19], v[18:19], off
	;; [unrolled: 1-line block ×4, first 2 shown]
	v_mad_co_u64_u32 v[42:43], null, s18, v44, 0
	v_lshlrev_b64_e32 v[30:31], 4, v[30:31]
	s_delay_alu instid0(VALU_DEP_1) | instskip(SKIP_1) | instid1(VALU_DEP_4)
	v_add_co_u32 v26, s0, v24, v30
	v_lshlrev_b64_e32 v[29:30], 4, v[40:41]
	v_mov_b32_e32 v28, v43
	s_wait_alu 0xf1ff
	s_delay_alu instid0(VALU_DEP_4) | instskip(SKIP_1) | instid1(VALU_DEP_3)
	v_add_co_ci_u32_e64 v27, s0, v25, v31, s0
	v_mov_b32_e32 v31, v47
	v_mad_co_u64_u32 v[40:41], null, s19, v44, v[28:29]
	v_mad_co_u64_u32 v[44:45], null, s18, v48, 0
	v_add_co_u32 v28, s0, v24, v29
	s_wait_alu 0xf1ff
	v_add_co_ci_u32_e64 v29, s0, v25, v30, s0
	s_delay_alu instid0(VALU_DEP_4)
	v_mov_b32_e32 v43, v40
	v_mad_co_u64_u32 v[40:41], null, s18, v50, 0
	v_mov_b32_e32 v30, v45
	s_clause 0x1
	global_load_b128 v[60:63], v[26:27], off
	global_load_b128 v[64:67], v[28:29], off
	v_lshlrev_b64_e32 v[27:28], 4, v[42:43]
	v_mad_co_u64_u32 v[47:48], null, s19, v48, v[30:31]
	v_mov_b32_e32 v26, v41
	v_mad_co_u64_u32 v[48:49], null, s18, v51, 0
	s_delay_alu instid0(VALU_DEP_3) | instskip(SKIP_2) | instid1(VALU_DEP_1)
	v_mov_b32_e32 v45, v47
	s_wait_loadcnt 0x2
	v_mad_co_u64_u32 v[30:31], null, s19, v111, v[31:32]
	v_mov_b32_e32 v47, v30
	v_mad_co_u64_u32 v[29:30], null, s19, v50, v[26:27]
	v_mov_b32_e32 v26, v49
	v_add_co_u32 v27, s0, v24, v27
	v_lshlrev_b64_e32 v[30:31], 4, v[44:45]
	s_wait_alu 0xf1ff
	v_add_co_ci_u32_e64 v28, s0, v25, v28, s0
	s_delay_alu instid0(VALU_DEP_3)
	v_mad_co_u64_u32 v[42:43], null, s19, v51, v[26:27]
	v_lshlrev_b64_e32 v[43:44], 4, v[46:47]
	v_mov_b32_e32 v41, v29
	v_add_co_u32 v29, s0, v24, v30
	s_wait_alu 0xf1ff
	v_add_co_ci_u32_e64 v30, s0, v25, v31, s0
	v_mov_b32_e32 v49, v42
	v_lshlrev_b64_e32 v[40:41], 4, v[40:41]
	v_add_co_u32 v42, s0, v24, v43
	s_wait_alu 0xf1ff
	v_add_co_ci_u32_e64 v43, s0, v25, v44, s0
	v_lshlrev_b64_e32 v[44:45], 4, v[48:49]
	s_delay_alu instid0(VALU_DEP_4) | instskip(SKIP_2) | instid1(VALU_DEP_3)
	v_add_co_u32 v40, s0, v24, v40
	s_wait_alu 0xf1ff
	v_add_co_ci_u32_e64 v41, s0, v25, v41, s0
	v_add_co_u32 v44, s0, v24, v44
	s_wait_alu 0xf1ff
	v_add_co_ci_u32_e64 v45, s0, v25, v45, s0
	s_clause 0x4
	global_load_b128 v[76:79], v[27:28], off
	global_load_b128 v[68:71], v[29:30], off
	;; [unrolled: 1-line block ×5, first 2 shown]
	v_cmpx_gt_u32_e32 18, v106
	s_cbranch_execz .LBB0_14
; %bb.13:
	v_add_nc_u32_e32 v40, 0x10e, v106
	v_add_nc_u32_e32 v42, 0x22e, v106
	;; [unrolled: 1-line block ×3, first 2 shown]
	s_delay_alu instid0(VALU_DEP_3) | instskip(NEXT) | instid1(VALU_DEP_3)
	v_mad_co_u64_u32 v[26:27], null, s18, v40, 0
	v_mad_co_u64_u32 v[28:29], null, s18, v42, 0
	s_delay_alu instid0(VALU_DEP_3) | instskip(NEXT) | instid1(VALU_DEP_2)
	v_mad_co_u64_u32 v[30:31], null, s18, v43, 0
	v_mad_co_u64_u32 v[40:41], null, s19, v40, v[27:28]
	s_delay_alu instid0(VALU_DEP_1) | instskip(NEXT) | instid1(VALU_DEP_3)
	v_mov_b32_e32 v27, v40
	v_mad_co_u64_u32 v[41:42], null, s19, v42, v[29:30]
	s_delay_alu instid0(VALU_DEP_4) | instskip(NEXT) | instid1(VALU_DEP_3)
	v_mad_co_u64_u32 v[42:43], null, s19, v43, v[31:32]
	v_lshlrev_b64_e32 v[26:27], 4, v[26:27]
	s_delay_alu instid0(VALU_DEP_3) | instskip(NEXT) | instid1(VALU_DEP_3)
	v_mov_b32_e32 v29, v41
	v_mov_b32_e32 v31, v42
	s_delay_alu instid0(VALU_DEP_3) | instskip(NEXT) | instid1(VALU_DEP_3)
	v_add_co_u32 v26, s0, v24, v26
	v_lshlrev_b64_e32 v[28:29], 4, v[28:29]
	s_wait_alu 0xf1ff
	v_add_co_ci_u32_e64 v27, s0, v25, v27, s0
	v_lshlrev_b64_e32 v[30:31], 4, v[30:31]
	s_delay_alu instid0(VALU_DEP_3) | instskip(SKIP_2) | instid1(VALU_DEP_3)
	v_add_co_u32 v28, s0, v24, v28
	s_wait_alu 0xf1ff
	v_add_co_ci_u32_e64 v29, s0, v25, v29, s0
	v_add_co_u32 v24, s0, v24, v30
	s_wait_alu 0xf1ff
	v_add_co_ci_u32_e64 v25, s0, v25, v31, s0
	s_clause 0x2
	global_load_b128 v[92:95], v[26:27], off
	global_load_b128 v[96:99], v[28:29], off
	;; [unrolled: 1-line block ×3, first 2 shown]
.LBB0_14:
	s_wait_alu 0xfffe
	s_or_b32 exec_lo, exec_lo, s6
.LBB0_15:
	s_delay_alu instid0(SALU_CYCLE_1)
	s_or_b32 exec_lo, exec_lo, s1
	v_add_f64_e32 v[24:25], v[8:9], v[0:1]
	v_add_f64_e32 v[26:27], v[20:21], v[16:17]
	s_wait_loadcnt 0x6
	v_add_f64_e32 v[28:29], v[32:33], v[60:61]
	s_wait_loadcnt 0x3
	;; [unrolled: 2-line block ×3, first 2 shown]
	v_add_f64_e32 v[40:41], v[88:89], v[96:97]
	v_add_f64_e32 v[42:43], v[84:85], v[72:73]
	;; [unrolled: 1-line block ×3, first 2 shown]
	v_add_f64_e64 v[46:47], v[10:11], -v[2:3]
	v_add_f64_e32 v[48:49], v[4:5], v[20:21]
	v_add_f64_e64 v[50:51], v[22:23], -v[18:19]
	v_add_f64_e32 v[54:55], v[76:77], v[64:65]
	v_add_f64_e32 v[56:57], v[96:97], v[92:93]
	;; [unrolled: 1-line block ×3, first 2 shown]
	v_add_f64_e64 v[104:105], v[34:35], -v[62:63]
	v_add_f64_e64 v[112:113], v[98:99], -v[90:91]
	v_add_f64_e32 v[52:53], v[32:33], v[36:37]
	s_mov_b32 s0, 0xe8584caa
	s_mov_b32 s1, 0x3febb67a
	;; [unrolled: 1-line block ×3, first 2 shown]
	s_wait_alu 0xfffe
	s_mov_b32 s6, s0
	v_mad_i32_i24 v114, v108, 24, 0
	v_fma_f64 v[12:13], v[24:25], -0.5, v[12:13]
	v_fma_f64 v[4:5], v[26:27], -0.5, v[4:5]
	v_add_f64_e64 v[26:27], v[78:79], -v[70:71]
	v_fma_f64 v[28:29], v[28:29], -0.5, v[36:37]
	v_fma_f64 v[30:31], v[30:31], -0.5, v[64:65]
	v_add_f64_e64 v[64:65], v[86:87], -v[74:75]
	v_fma_f64 v[40:41], v[40:41], -0.5, v[92:93]
	v_fma_f64 v[42:43], v[42:43], -0.5, v[80:81]
	v_add_f64_e32 v[44:45], v[0:1], v[44:45]
	v_add_f64_e32 v[48:49], v[48:49], v[16:17]
	;; [unrolled: 1-line block ×6, first 2 shown]
	v_fma_f64 v[56:57], v[46:47], s[0:1], v[12:13]
	v_fma_f64 v[58:59], v[50:51], s[0:1], v[4:5]
	s_wait_alu 0xfffe
	v_fma_f64 v[4:5], v[50:51], s[6:7], v[4:5]
	v_fma_f64 v[50:51], v[104:105], s[0:1], v[28:29]
	;; [unrolled: 1-line block ×10, first 2 shown]
	v_mad_u32_u24 v13, v106, 24, 0
	v_mad_i32_i24 v12, v107, 24, 0
	v_cmp_gt_u32_e64 s0, 18, v106
	v_mad_i32_i24 v40, v109, 24, 0
	v_mad_i32_i24 v41, v111, 24, 0
	ds_store_2addr_b64 v13, v[44:45], v[56:57] offset1:1
	ds_store_b64 v13, v[46:47] offset:16
	ds_store_2addr_b64 v12, v[48:49], v[58:59] offset1:1
	ds_store_b64 v12, v[4:5] offset:16
	;; [unrolled: 2-line block ×5, first 2 shown]
	s_and_saveexec_b32 s1, s0
	s_cbranch_execz .LBB0_17
; %bb.16:
	v_add_nc_u32_e32 v4, 0x1950, v13
	ds_store_2addr_b64 v4, v[24:25], v[26:27] offset1:1
	ds_store_b64 v13, v[92:93] offset:6496
.LBB0_17:
	s_wait_alu 0xfffe
	s_or_b32 exec_lo, exec_lo, s1
	v_lshlrev_b32_e32 v4, 4, v106
	v_lshlrev_b32_e32 v110, 4, v107
	global_wb scope:SCOPE_SE
	s_wait_dscnt 0x0
	s_wait_kmcnt 0x0
	s_barrier_signal -1
	s_barrier_wait -1
	v_sub_nc_u32_e32 v112, v13, v4
	global_inv scope:SCOPE_SE
	v_sub_nc_u32_e32 v5, v12, v110
	v_mul_i32_i24_e32 v116, 24, v109
	v_mul_i32_i24_e32 v113, 24, v111
	v_add_nc_u32_e32 v28, 0x400, v112
	v_add_nc_u32_e32 v29, 0x800, v112
	;; [unrolled: 1-line block ×4, first 2 shown]
	ds_load_2addr_b64 v[40:43], v112 offset1:144
	ds_load_2addr_b64 v[44:47], v28 offset0:70 offset1:160
	ds_load_2addr_b64 v[48:51], v29 offset0:86 offset1:176
	;; [unrolled: 1-line block ×4, first 2 shown]
	ds_load_b64 v[64:65], v5
	ds_load_b64 v[104:105], v112 offset:6192
	v_cmp_gt_u32_e64 s1, 36, v106
	v_lshlrev_b32_e32 v115, 4, v108
	s_delay_alu instid0(VALU_DEP_2)
	s_and_saveexec_b32 s6, s1
	s_cbranch_execz .LBB0_19
; %bb.18:
	v_add_nc_u32_e32 v5, 0x600, v112
	s_delay_alu instid0(VALU_DEP_2)
	v_sub_nc_u32_e32 v36, v114, v115
	ds_load_2addr_b64 v[28:31], v5 offset0:60 offset1:204
	ds_load_2addr_b64 v[24:27], v4 offset0:28 offset1:172
	ds_load_b64 v[36:37], v36
	ds_load_b64 v[92:93], v112 offset:6624
	s_wait_dscnt 0x3
	v_dual_mov_b32 v81, v29 :: v_dual_mov_b32 v80, v28
.LBB0_19:
	s_wait_alu 0xfffe
	s_or_b32 exec_lo, exec_lo, s6
	v_add_f64_e32 v[4:5], v[10:11], v[2:3]
	v_add_f64_e32 v[28:29], v[22:23], v[18:19]
	;; [unrolled: 1-line block ×7, first 2 shown]
	v_add_f64_e64 v[0:1], v[8:9], -v[0:1]
	v_add_f64_e32 v[8:9], v[6:7], v[22:23]
	v_add_f64_e32 v[22:23], v[34:35], v[38:39]
	;; [unrolled: 1-line block ×5, first 2 shown]
	v_add_f64_e64 v[16:17], v[20:21], -v[16:17]
	v_add_f64_e64 v[20:21], v[32:33], -v[60:61]
	s_mov_b32 s6, 0xe8584caa
	s_mov_b32 s7, 0xbfebb67a
	;; [unrolled: 1-line block ×3, first 2 shown]
	s_wait_alu 0xfffe
	s_mov_b32 s8, s6
	global_wb scope:SCOPE_SE
	s_wait_dscnt 0x0
	s_barrier_signal -1
	s_barrier_wait -1
	global_inv scope:SCOPE_SE
	v_fma_f64 v[14:15], v[4:5], -0.5, v[14:15]
	v_fma_f64 v[6:7], v[28:29], -0.5, v[6:7]
	;; [unrolled: 1-line block ×3, first 2 shown]
	v_add_f64_e64 v[38:39], v[76:77], -v[68:69]
	v_fma_f64 v[60:61], v[119:120], -0.5, v[66:67]
	v_add_f64_e64 v[66:67], v[84:85], -v[72:73]
	v_fma_f64 v[68:69], v[121:122], -0.5, v[82:83]
	;; [unrolled: 2-line block ×3, first 2 shown]
	v_add_f64_e32 v[2:3], v[2:3], v[10:11]
	v_add_f64_e32 v[18:19], v[8:9], v[18:19]
	v_add_f64_e32 v[22:23], v[62:63], v[22:23]
	v_add_f64_e32 v[34:35], v[70:71], v[34:35]
	v_add_f64_e32 v[28:29], v[78:79], v[74:75]
	v_add_f64_e32 v[4:5], v[90:91], v[86:87]
	v_fma_f64 v[62:63], v[0:1], s[6:7], v[14:15]
	s_wait_alu 0xfffe
	v_fma_f64 v[0:1], v[0:1], s[8:9], v[14:15]
	v_fma_f64 v[70:71], v[16:17], s[6:7], v[6:7]
	;; [unrolled: 1-line block ×11, first 2 shown]
	v_sub_nc_u32_e32 v14, 0, v110
	v_add_nc_u32_e32 v110, 0x10e, v106
	v_add_nc_u32_e32 v17, 0, v116
	v_add_nc_u32_e32 v66, 0, v113
	ds_store_2addr_b64 v13, v[2:3], v[62:63] offset1:1
	ds_store_b64 v13, v[0:1] offset:16
	ds_store_2addr_b64 v12, v[18:19], v[70:71] offset1:1
	ds_store_b64 v12, v[15:16] offset:16
	;; [unrolled: 2-line block ×5, first 2 shown]
	s_and_saveexec_b32 s6, s0
	s_cbranch_execz .LBB0_21
; %bb.20:
	v_mad_u32_u24 v0, v110, 24, 0
	ds_store_2addr_b64 v0, v[4:5], v[6:7] offset1:1
	ds_store_b64 v0, v[60:61] offset:16
.LBB0_21:
	s_wait_alu 0xfffe
	s_or_b32 exec_lo, exec_lo, s6
	v_add_nc_u32_e32 v13, 0x400, v112
	v_add_nc_u32_e32 v15, 0x800, v112
	;; [unrolled: 1-line block ×5, first 2 shown]
	global_wb scope:SCOPE_SE
	s_wait_dscnt 0x0
	s_barrier_signal -1
	s_barrier_wait -1
	global_inv scope:SCOPE_SE
	ds_load_2addr_b64 v[0:3], v112 offset1:144
	ds_load_2addr_b64 v[16:19], v13 offset0:70 offset1:160
	ds_load_2addr_b64 v[12:15], v15 offset0:86 offset1:176
	ds_load_2addr_b64 v[32:35], v20 offset0:102 offset1:192
	ds_load_2addr_b64 v[20:23], v66 offset0:118 offset1:208
	ds_load_b64 v[38:39], v113
	ds_load_b64 v[62:63], v112 offset:6192
	s_and_saveexec_b32 s6, s1
	s_cbranch_execz .LBB0_23
; %bb.22:
	v_add_nc_u32_e32 v4, 0x600, v112
	v_sub_nc_u32_e32 v28, v114, v115
	ds_load_2addr_b64 v[8:11], v4 offset0:60 offset1:204
	ds_load_2addr_b64 v[4:7], v66 offset0:28 offset1:172
	ds_load_b64 v[28:29], v28
	ds_load_b64 v[60:61], v112 offset:6624
.LBB0_23:
	s_wait_alu 0xfffe
	s_or_b32 exec_lo, exec_lo, s6
	v_and_b32_e32 v94, 0xff, v106
	v_and_b32_e32 v66, 0xff, v107
	;; [unrolled: 1-line block ×3, first 2 shown]
	s_mov_b32 s6, 0xe8584caa
	s_mov_b32 s7, 0x3febb67a
	v_mul_lo_u16 v67, 0xab, v94
	v_mul_lo_u16 v66, 0xab, v66
	s_mov_b32 s9, 0xbfebb67a
	s_wait_alu 0xfffe
	s_mov_b32 s8, s6
	v_lshrrev_b16 v99, 9, v67
	v_mul_lo_u16 v67, 0xab, v68
	v_lshrrev_b16 v164, 9, v66
	s_delay_alu instid0(VALU_DEP_3) | instskip(NEXT) | instid1(VALU_DEP_3)
	v_mul_lo_u16 v66, v99, 3
	v_lshrrev_b16 v165, 9, v67
	s_delay_alu instid0(VALU_DEP_3) | instskip(NEXT) | instid1(VALU_DEP_3)
	v_mul_lo_u16 v67, v164, 3
	v_sub_nc_u16 v66, v106, v66
	s_delay_alu instid0(VALU_DEP_3) | instskip(NEXT) | instid1(VALU_DEP_3)
	v_mul_lo_u16 v68, v165, 3
	v_sub_nc_u16 v67, v107, v67
	s_delay_alu instid0(VALU_DEP_3) | instskip(NEXT) | instid1(VALU_DEP_3)
	v_and_b32_e32 v166, 0xff, v66
	v_sub_nc_u16 v66, v108, v68
	s_delay_alu instid0(VALU_DEP_3) | instskip(NEXT) | instid1(VALU_DEP_3)
	v_and_b32_e32 v167, 0xff, v67
	v_mul_u32_u24_e32 v67, 5, v166
	s_delay_alu instid0(VALU_DEP_3) | instskip(NEXT) | instid1(VALU_DEP_3)
	v_and_b32_e32 v168, 0xff, v66
	v_mul_u32_u24_e32 v66, 5, v167
	s_delay_alu instid0(VALU_DEP_3) | instskip(NEXT) | instid1(VALU_DEP_3)
	v_lshlrev_b32_e32 v78, 4, v67
	v_mul_u32_u24_e32 v74, 5, v168
	s_delay_alu instid0(VALU_DEP_3)
	v_lshlrev_b32_e32 v79, 4, v66
	s_clause 0x1
	global_load_b128 v[66:69], v78, s[4:5] offset:32
	global_load_b128 v[70:73], v78, s[4:5] offset:64
	v_lshlrev_b32_e32 v90, 4, v74
	s_clause 0xc
	global_load_b128 v[74:77], v79, s[4:5] offset:32
	global_load_b128 v[82:85], v79, s[4:5] offset:64
	global_load_b128 v[86:89], v90, s[4:5] offset:64
	global_load_b128 v[95:98], v90, s[4:5] offset:32
	global_load_b128 v[114:117], v78, s[4:5]
	global_load_b128 v[118:121], v79, s[4:5]
	;; [unrolled: 1-line block ×3, first 2 shown]
	global_load_b128 v[126:129], v78, s[4:5] offset:48
	global_load_b128 v[130:133], v78, s[4:5] offset:16
	;; [unrolled: 1-line block ×6, first 2 shown]
	global_wb scope:SCOPE_SE
	s_wait_loadcnt_dscnt 0x0
	s_barrier_signal -1
	s_barrier_wait -1
	global_inv scope:SCOPE_SE
	v_mul_f64_e32 v[150:151], v[32:33], v[76:77]
	v_mul_f64_e32 v[76:77], v[56:57], v[76:77]
	;; [unrolled: 1-line block ×18, first 2 shown]
	v_fma_f64 v[150:151], v[56:57], v[74:75], -v[150:151]
	v_fma_f64 v[32:33], v[32:33], v[74:75], v[76:77]
	v_mul_f64_e32 v[74:75], v[20:21], v[140:141]
	v_fma_f64 v[56:57], v[92:93], v[86:87], -v[154:155]
	v_mul_f64_e32 v[76:77], v[10:11], v[144:145]
	v_fma_f64 v[78:79], v[50:51], v[66:67], -v[78:79]
	v_fma_f64 v[66:67], v[14:15], v[66:67], v[68:69]
	v_fma_f64 v[14:15], v[22:23], v[70:71], v[90:91]
	v_fma_f64 v[90:91], v[54:55], v[70:71], -v[72:73]
	v_fma_f64 v[22:23], v[62:63], v[82:83], v[152:153]
	v_fma_f64 v[50:51], v[60:61], v[86:87], v[88:89]
	;; [unrolled: 1-line block ×3, first 2 shown]
	v_fma_f64 v[60:61], v[24:25], v[95:96], -v[97:98]
	v_fma_f64 v[84:85], v[104:105], v[82:83], -v[84:85]
	v_mul_f64_e32 v[62:63], v[34:35], v[128:129]
	v_mul_f64_e32 v[68:69], v[18:19], v[132:133]
	;; [unrolled: 1-line block ×4, first 2 shown]
	v_fma_f64 v[42:43], v[42:43], v[114:115], -v[158:159]
	v_fma_f64 v[2:3], v[2:3], v[114:115], v[116:117]
	v_fma_f64 v[4:5], v[16:17], v[118:119], v[120:121]
	v_fma_f64 v[70:71], v[80:81], v[122:123], -v[162:163]
	v_fma_f64 v[24:25], v[8:9], v[122:123], v[124:125]
	v_fma_f64 v[92:93], v[44:45], v[118:119], -v[160:161]
	v_mul_f64_e32 v[114:115], v[58:59], v[128:129]
	v_mul_f64_e32 v[116:117], v[46:47], v[132:133]
	;; [unrolled: 1-line block ×6, first 2 shown]
	v_fma_f64 v[8:9], v[30:31], v[142:143], -v[76:77]
	v_add_f64_e32 v[86:87], v[66:67], v[14:15]
	v_add_f64_e32 v[88:89], v[78:79], v[90:91]
	;; [unrolled: 1-line block ×3, first 2 shown]
	v_add_f64_e64 v[76:77], v[78:79], -v[90:91]
	v_add_f64_e32 v[80:81], v[54:55], v[50:51]
	v_add_f64_e32 v[104:105], v[60:61], v[56:57]
	;; [unrolled: 1-line block ×3, first 2 shown]
	v_fma_f64 v[58:59], v[58:59], v[126:127], -v[62:63]
	v_fma_f64 v[62:63], v[46:47], v[130:131], -v[68:69]
	;; [unrolled: 1-line block ×5, first 2 shown]
	v_add_f64_e64 v[74:75], v[66:67], -v[14:15]
	v_add_f64_e64 v[128:129], v[150:151], -v[84:85]
	;; [unrolled: 1-line block ×4, first 2 shown]
	v_fma_f64 v[34:35], v[34:35], v[126:127], v[114:115]
	v_fma_f64 v[72:73], v[18:19], v[130:131], v[116:117]
	;; [unrolled: 1-line block ×6, first 2 shown]
	v_fma_f64 v[86:87], v[86:87], -0.5, v[2:3]
	v_fma_f64 v[82:83], v[88:89], -0.5, v[42:43]
	;; [unrolled: 1-line block ×3, first 2 shown]
	v_add_f64_e64 v[88:89], v[32:33], -v[22:23]
	v_fma_f64 v[140:141], v[80:81], -0.5, v[24:25]
	v_fma_f64 v[104:105], v[104:105], -0.5, v[70:71]
	;; [unrolled: 1-line block ×3, first 2 shown]
	v_add_f64_e32 v[42:43], v[42:43], v[78:79]
	v_add_f64_e32 v[80:81], v[62:63], v[58:59]
	;; [unrolled: 1-line block ×7, first 2 shown]
	v_add_f64_e64 v[120:121], v[72:73], -v[34:35]
	v_add_f64_e64 v[124:125], v[68:69], -v[12:13]
	v_add_f64_e64 v[126:127], v[30:31], -v[26:27]
	s_wait_alu 0xfffe
	v_fma_f64 v[52:53], v[76:77], s[8:9], v[86:87]
	v_fma_f64 v[48:49], v[74:75], s[8:9], v[82:83]
	;; [unrolled: 1-line block ×8, first 2 shown]
	v_fma_f64 v[40:41], v[80:81], -0.5, v[40:41]
	v_fma_f64 v[78:79], v[88:89], s[6:7], v[97:98]
	v_fma_f64 v[114:115], v[114:115], -0.5, v[64:65]
	v_fma_f64 v[116:117], v[116:117], -0.5, v[36:37]
	v_fma_f64 v[74:75], v[132:133], s[6:7], v[104:105]
	v_fma_f64 v[64:65], v[136:137], s[6:7], v[140:141]
	;; [unrolled: 1-line block ×3, first 2 shown]
	v_add_f64_e32 v[118:119], v[118:119], v[58:59]
	v_add_f64_e32 v[42:43], v[42:43], v[90:91]
	v_add_f64_e32 v[122:123], v[122:123], v[46:47]
	v_add_f64_e32 v[92:93], v[92:93], v[84:85]
	v_mul_f64_e32 v[86:87], s[6:7], v[52:53]
	v_mul_f64_e32 v[130:131], -0.5, v[48:49]
	v_mul_f64_e32 v[88:89], s[6:7], v[20:21]
	v_mul_f64_e32 v[97:98], s[6:7], v[10:11]
	v_mul_f64_e32 v[104:105], -0.5, v[6:7]
	v_mul_f64_e32 v[95:96], -0.5, v[18:19]
	v_fma_f64 v[128:129], v[120:121], s[6:7], v[40:41]
	v_fma_f64 v[40:41], v[120:121], s[8:9], v[40:41]
	;; [unrolled: 1-line block ×5, first 2 shown]
	v_fma_f64 v[120:121], v[82:83], 0.5, v[86:87]
	v_fma_f64 v[130:131], v[76:77], s[6:7], v[130:131]
	v_fma_f64 v[124:125], v[78:79], 0.5, v[88:89]
	v_fma_f64 v[86:87], v[126:127], s[8:9], v[116:117]
	;; [unrolled: 2-line block ×3, first 2 shown]
	v_fma_f64 v[95:96], v[80:81], s[6:7], v[95:96]
	v_add_f64_e32 v[97:98], v[118:119], v[42:43]
	v_add_f64_e64 v[104:105], v[118:119], -v[42:43]
	v_add_f64_e32 v[116:117], v[122:123], v[92:93]
	v_add_f64_e64 v[118:119], v[122:123], -v[92:93]
	v_and_b32_e32 v92, 0xffff, v99
	v_and_b32_e32 v93, 0xffff, v164
	s_delay_alu instid0(VALU_DEP_1)
	v_mul_u32_u24_e32 v99, 0x90, v93
	v_lshlrev_b32_e32 v93, 3, v168
	v_add_f64_e32 v[122:123], v[128:129], v[120:121]
	v_add_f64_e32 v[126:127], v[40:41], v[130:131]
	v_add_f64_e64 v[120:121], v[128:129], -v[120:121]
	v_add_f64_e64 v[128:129], v[40:41], -v[130:131]
	;; [unrolled: 1-line block ×4, first 2 shown]
	v_add_f64_e32 v[130:131], v[132:133], v[124:125]
	v_add_f64_e32 v[134:135], v[114:115], v[95:96]
	v_add_f64_e64 v[124:125], v[132:133], -v[124:125]
	v_add_f64_e64 v[114:115], v[114:115], -v[95:96]
	v_mul_u32_u24_e32 v95, 0x90, v92
	v_lshlrev_b32_e32 v96, 3, v166
	v_lshlrev_b32_e32 v132, 3, v167
	v_and_b32_e32 v92, 0xffff, v165
	s_delay_alu instid0(VALU_DEP_3) | instskip(NEXT) | instid1(VALU_DEP_3)
	v_add3_u32 v96, 0, v95, v96
	v_add3_u32 v95, 0, v99, v132
	ds_store_2addr_b64 v96, v[97:98], v[122:123] offset1:3
	ds_store_2addr_b64 v96, v[126:127], v[104:105] offset0:6 offset1:9
	ds_store_2addr_b64 v96, v[120:121], v[128:129] offset0:12 offset1:15
	ds_store_2addr_b64 v95, v[116:117], v[130:131] offset1:3
	ds_store_2addr_b64 v95, v[134:135], v[118:119] offset0:6 offset1:9
	ds_store_2addr_b64 v95, v[124:125], v[114:115] offset0:12 offset1:15
	s_and_saveexec_b32 s12, s1
	s_cbranch_execz .LBB0_25
; %bb.24:
	v_add_f64_e32 v[36:37], v[36:37], v[8:9]
	v_add_f64_e32 v[60:61], v[70:71], v[60:61]
	;; [unrolled: 1-line block ×3, first 2 shown]
	s_delay_alu instid0(VALU_DEP_3) | instskip(NEXT) | instid1(VALU_DEP_3)
	v_add_f64_e32 v[36:37], v[36:37], v[16:17]
	v_add_f64_e32 v[56:57], v[60:61], v[56:57]
	;; [unrolled: 1-line block ×3, first 2 shown]
	s_delay_alu instid0(VALU_DEP_2) | instskip(SKIP_2) | instid1(VALU_DEP_1)
	v_add_f64_e32 v[84:85], v[36:37], v[56:57]
	v_add_f64_e64 v[36:37], v[36:37], -v[56:57]
	v_mul_u32_u24_e32 v56, 0x90, v92
	v_add3_u32 v56, 0, v56, v93
	ds_store_2addr_b64 v56, v[84:85], v[70:71] offset1:3
	ds_store_2addr_b64 v56, v[60:61], v[36:37] offset0:6 offset1:9
	ds_store_2addr_b64 v56, v[40:41], v[42:43] offset0:12 offset1:15
.LBB0_25:
	s_or_b32 exec_lo, exec_lo, s12
	v_add_f64_e32 v[36:37], v[72:73], v[34:35]
	v_add_f64_e32 v[56:57], v[68:69], v[12:13]
	;; [unrolled: 1-line block ×4, first 2 shown]
	v_add_f64_e64 v[58:59], v[62:63], -v[58:59]
	v_add_f64_e32 v[2:3], v[2:3], v[66:67]
	v_mul_f64_e32 v[62:63], s[8:9], v[82:83]
	v_add_f64_e32 v[66:67], v[38:39], v[68:69]
	v_add_f64_e32 v[4:5], v[4:5], v[32:33]
	v_mul_f64_e32 v[32:33], -0.5, v[76:77]
	v_add_f64_e64 v[8:9], v[8:9], -v[16:17]
	v_mul_f64_e32 v[16:17], s[8:9], v[74:75]
	v_lshl_add_u32 v105, v108, 3, 0
	v_lshl_add_u32 v114, v109, 3, 0
	;; [unrolled: 1-line block ×3, first 2 shown]
	global_wb scope:SCOPE_SE
	s_wait_dscnt 0x0
	s_barrier_signal -1
	s_barrier_wait -1
	global_inv scope:SCOPE_SE
	v_lshl_add_u32 v104, v106, 3, 0
	v_add_nc_u32_e32 v116, 0x1000, v112
	v_fma_f64 v[0:1], v[36:37], -0.5, v[0:1]
	v_add_f64_e64 v[36:37], v[44:45], -v[46:47]
	v_mul_f64_e32 v[44:45], s[8:9], v[78:79]
	v_fma_f64 v[38:39], v[56:57], -0.5, v[38:39]
	v_mul_f64_e32 v[56:57], -0.5, v[64:65]
	v_fma_f64 v[60:61], v[60:61], -0.5, v[28:29]
	v_mul_f64_e32 v[46:47], -0.5, v[80:81]
	v_add_f64_e32 v[34:35], v[70:71], v[34:35]
	v_add_f64_e32 v[2:3], v[2:3], v[14:15]
	v_fma_f64 v[14:15], v[52:53], 0.5, v[62:63]
	v_add_f64_e32 v[4:5], v[4:5], v[22:23]
	v_fma_f64 v[22:23], v[48:49], s[8:9], v[32:33]
	v_fma_f64 v[48:49], v[10:11], 0.5, v[16:17]
	v_add_f64_e32 v[12:13], v[66:67], v[12:13]
	v_fma_f64 v[32:33], v[58:59], s[8:9], v[0:1]
	v_fma_f64 v[0:1], v[58:59], s[6:7], v[0:1]
	v_fma_f64 v[20:21], v[20:21], 0.5, v[44:45]
	v_fma_f64 v[44:45], v[36:37], s[8:9], v[38:39]
	v_fma_f64 v[52:53], v[6:7], s[8:9], v[56:57]
	;; [unrolled: 1-line block ×6, first 2 shown]
	v_add_f64_e32 v[62:63], v[34:35], v[2:3]
	v_add_f64_e64 v[64:65], v[34:35], -v[2:3]
	v_add_nc_u32_e32 v60, 0x800, v112
	v_add_nc_u32_e32 v61, 0x1400, v112
	v_add_f64_e32 v[66:67], v[12:13], v[4:5]
	v_add_f64_e64 v[68:69], v[12:13], -v[4:5]
	v_add_f64_e32 v[70:71], v[32:33], v[14:15]
	v_add_f64_e32 v[72:73], v[0:1], v[22:23]
	v_add_f64_e64 v[74:75], v[32:33], -v[14:15]
	v_add_f64_e32 v[78:79], v[44:45], v[20:21]
	v_add_f64_e64 v[82:83], v[44:45], -v[20:21]
	v_add_f64_e64 v[44:45], v[56:57], -v[48:49]
	;; [unrolled: 1-line block ×4, first 2 shown]
	v_add_f64_e32 v[80:81], v[36:37], v[18:19]
	v_add_f64_e64 v[84:85], v[36:37], -v[18:19]
	ds_load_b64 v[16:17], v112
	ds_load_b64 v[36:37], v105
	;; [unrolled: 1-line block ×5, first 2 shown]
	ds_load_b64 v[18:19], v104 offset:2160
	ds_load_2addr_b64 v[0:3], v60 offset0:68 offset1:122
	ds_load_2addr_b64 v[20:23], v60 offset0:176 offset1:230
	;; [unrolled: 1-line block ×5, first 2 shown]
	global_wb scope:SCOPE_SE
	s_wait_dscnt 0x0
	s_barrier_signal -1
	s_barrier_wait -1
	global_inv scope:SCOPE_SE
	ds_store_2addr_b64 v96, v[62:63], v[70:71] offset1:3
	ds_store_2addr_b64 v96, v[72:73], v[64:65] offset0:6 offset1:9
	ds_store_2addr_b64 v96, v[74:75], v[76:77] offset0:12 offset1:15
	ds_store_2addr_b64 v95, v[66:67], v[78:79] offset1:3
	ds_store_2addr_b64 v95, v[80:81], v[68:69] offset0:6 offset1:9
	ds_store_2addr_b64 v95, v[82:83], v[84:85] offset0:12 offset1:15
	s_and_saveexec_b32 s6, s1
	s_cbranch_execz .LBB0_27
; %bb.26:
	v_add_f64_e32 v[28:29], v[28:29], v[30:31]
	v_add_f64_e32 v[24:25], v[24:25], v[54:55]
	v_add_f64_e32 v[30:31], v[58:59], v[52:53]
	s_delay_alu instid0(VALU_DEP_3) | instskip(NEXT) | instid1(VALU_DEP_3)
	v_add_f64_e32 v[26:27], v[28:29], v[26:27]
	v_add_f64_e32 v[24:25], v[24:25], v[50:51]
	;; [unrolled: 1-line block ×3, first 2 shown]
	s_delay_alu instid0(VALU_DEP_2) | instskip(SKIP_2) | instid1(VALU_DEP_1)
	v_add_f64_e32 v[48:49], v[26:27], v[24:25]
	v_add_f64_e64 v[24:25], v[26:27], -v[24:25]
	v_mul_u32_u24_e32 v26, 0x90, v92
	v_add3_u32 v26, 0, v26, v93
	ds_store_2addr_b64 v26, v[48:49], v[28:29] offset1:3
	ds_store_2addr_b64 v26, v[30:31], v[24:25] offset0:6 offset1:9
	ds_store_2addr_b64 v26, v[44:45], v[46:47] offset0:12 offset1:15
.LBB0_27:
	s_wait_alu 0xfffe
	s_or_b32 exec_lo, exec_lo, s6
	v_mul_lo_u16 v24, v94, 57
	global_wb scope:SCOPE_SE
	s_wait_dscnt 0x0
	s_barrier_signal -1
	s_barrier_wait -1
	global_inv scope:SCOPE_SE
	v_lshrrev_b16 v52, 10, v24
	s_mov_b32 s18, 0x667f3bcd
	s_mov_b32 s19, 0x3fe6a09e
	;; [unrolled: 1-line block ×3, first 2 shown]
	s_wait_alu 0xfffe
	s_mov_b32 s20, s18
	v_mul_lo_u16 v24, v52, 18
	s_mov_b32 s12, 0xcf328d46
	s_mov_b32 s13, 0xbfed906b
	;; [unrolled: 1-line block ×4, first 2 shown]
	v_sub_nc_u16 v24, v106, v24
	s_mov_b32 s14, 0xa6aea964
	s_mov_b32 s15, 0xbfd87de2
	;; [unrolled: 1-line block ×4, first 2 shown]
	v_and_b32_e32 v53, 0xff, v24
	v_and_b32_e32 v52, 0xffff, v52
	s_delay_alu instid0(VALU_DEP_2) | instskip(NEXT) | instid1(VALU_DEP_2)
	v_mul_u32_u24_e32 v24, 15, v53
	v_mul_u32_u24_e32 v52, 0x120, v52
	s_delay_alu instid0(VALU_DEP_2) | instskip(NEXT) | instid1(VALU_DEP_2)
	v_lshlrev_b32_e32 v28, 4, v24
	v_or_b32_e32 v52, v52, v53
	s_clause 0xe
	global_load_b128 v[54:57], v28, s[4:5] offset:320
	global_load_b128 v[62:65], v28, s[4:5] offset:336
	;; [unrolled: 1-line block ×15, first 2 shown]
	ds_load_b64 v[48:49], v113
	ds_load_b64 v[58:59], v105
	ds_load_2addr_b64 v[133:136], v116 offset0:28 offset1:82
	ds_load_2addr_b64 v[28:31], v60 offset0:176 offset1:230
	ds_load_b64 v[98:99], v114
	ds_load_2addr_b64 v[137:140], v60 offset0:68 offset1:122
	ds_load_2addr_b64 v[141:144], v116 offset0:136 offset1:190
	;; [unrolled: 1-line block ×3, first 2 shown]
	ds_load_b64 v[153:154], v115
	ds_load_b64 v[155:156], v104 offset:2160
	ds_load_b64 v[50:51], v112
	global_wb scope:SCOPE_SE
	s_wait_loadcnt_dscnt 0x0
	s_barrier_signal -1
	s_barrier_wait -1
	global_inv scope:SCOPE_SE
	v_mul_f64_e32 v[149:150], v[0:1], v[56:57]
	v_mul_f64_e32 v[151:152], v[2:3], v[64:65]
	;; [unrolled: 1-line block ×29, first 2 shown]
	v_fma_f64 v[137:138], v[137:138], v[54:55], v[149:150]
	v_fma_f64 v[139:140], v[139:140], v[62:63], v[151:152]
	v_fma_f64 v[38:39], v[38:39], v[66:67], -v[157:158]
	v_fma_f64 v[149:150], v[36:37], v[70:71], -v[159:160]
	;; [unrolled: 1-line block ×4, first 2 shown]
	v_fma_f64 v[141:142], v[141:142], v[82:83], v[165:166]
	v_fma_f64 v[151:152], v[20:21], v[24:25], -v[167:168]
	v_fma_f64 v[36:37], v[153:154], v[86:87], v[169:170]
	v_fma_f64 v[143:144], v[143:144], v[90:91], v[171:172]
	;; [unrolled: 1-line block ×3, first 2 shown]
	v_fma_f64 v[153:154], v[22:23], v[117:118], -v[175:176]
	v_fma_f64 v[155:156], v[155:156], v[121:122], v[177:178]
	v_fma_f64 v[34:35], v[34:35], v[125:126], -v[179:180]
	v_fma_f64 v[147:148], v[147:148], v[129:130], v[181:182]
	v_fma_f64 v[48:49], v[48:49], v[66:67], v[68:69]
	;; [unrolled: 1-line block ×4, first 2 shown]
	v_fma_f64 v[0:1], v[0:1], v[54:55], -v[56:57]
	v_fma_f64 v[54:55], v[133:134], v[74:75], v[76:77]
	v_fma_f64 v[56:57], v[135:136], v[78:79], v[80:81]
	v_fma_f64 v[8:9], v[8:9], v[82:83], -v[84:85]
	v_fma_f64 v[10:11], v[10:11], v[90:91], -v[92:93]
	v_fma_f64 v[4:5], v[4:5], v[94:95], -v[96:97]
	v_fma_f64 v[68:69], v[32:33], v[86:87], -v[88:89]
	v_fma_f64 v[18:19], v[18:19], v[121:122], -v[123:124]
	v_fma_f64 v[30:31], v[30:31], v[117:118], v[119:120]
	v_fma_f64 v[2:3], v[2:3], v[62:63], -v[64:65]
	v_fma_f64 v[6:7], v[6:7], v[129:130], -v[131:132]
	v_add_f64_e64 v[12:13], v[149:150], -v[12:13]
	v_add_f64_e64 v[62:63], v[16:17], -v[151:152]
	;; [unrolled: 1-line block ×15, first 2 shown]
	v_fma_f64 v[82:83], v[149:150], 2.0, -v[12:13]
	v_fma_f64 v[16:17], v[16:17], 2.0, -v[62:63]
	v_add_f64_e64 v[76:77], v[62:63], -v[22:23]
	v_add_f64_e64 v[84:85], v[12:13], -v[64:65]
	v_fma_f64 v[38:39], v[38:39], 2.0, -v[70:71]
	v_add_f64_e64 v[78:79], v[70:71], -v[72:73]
	v_fma_f64 v[34:35], v[34:35], 2.0, -v[14:15]
	;; [unrolled: 2-line block ×3, first 2 shown]
	v_fma_f64 v[68:69], v[68:69], 2.0, -v[32:33]
	v_fma_f64 v[30:31], v[58:59], 2.0, -v[8:9]
	;; [unrolled: 1-line block ×4, first 2 shown]
	v_add_f64_e32 v[4:5], v[8:9], v[4:5]
	v_fma_f64 v[64:65], v[66:67], 2.0, -v[54:55]
	v_add_f64_e32 v[10:11], v[56:57], v[10:11]
	v_fma_f64 v[66:67], v[139:140], 2.0, -v[74:75]
	v_fma_f64 v[2:3], v[2:3], 2.0, -v[6:7]
	v_add_f64_e32 v[6:7], v[54:55], v[6:7]
	v_fma_f64 v[48:49], v[48:49], 2.0, -v[56:57]
	v_fma_f64 v[86:87], v[62:63], 2.0, -v[76:77]
	;; [unrolled: 1-line block ×6, first 2 shown]
	v_add_f64_e64 v[74:75], v[82:83], -v[0:1]
	v_add_f64_e64 v[90:91], v[16:17], -v[68:69]
	;; [unrolled: 1-line block ×3, first 2 shown]
	v_fma_f64 v[0:1], v[8:9], 2.0, -v[4:5]
	v_add_f64_e64 v[8:9], v[38:39], -v[18:19]
	v_fma_f64 v[18:19], v[56:57], 2.0, -v[10:11]
	v_fma_f64 v[56:57], v[84:85], s[18:19], v[76:77]
	v_add_f64_e64 v[58:59], v[64:65], -v[66:67]
	v_fma_f64 v[66:67], v[80:81], s[18:19], v[78:79]
	v_add_f64_e64 v[2:3], v[34:35], -v[2:3]
	v_fma_f64 v[54:55], v[54:55], 2.0, -v[6:7]
	v_add_f64_e64 v[92:93], v[48:49], -v[62:63]
	v_fma_f64 v[68:69], v[12:13], s[20:21], v[86:87]
	v_fma_f64 v[62:63], v[6:7], s[18:19], v[10:11]
	;; [unrolled: 1-line block ×3, first 2 shown]
	v_fma_f64 v[82:83], v[82:83], 2.0, -v[74:75]
	v_fma_f64 v[16:17], v[16:17], 2.0, -v[90:91]
	v_add_f64_e64 v[96:97], v[90:91], -v[70:71]
	v_fma_f64 v[94:95], v[38:39], 2.0, -v[8:9]
	v_fma_f64 v[56:57], v[4:5], s[20:21], v[56:57]
	v_add_f64_e64 v[120:121], v[8:9], -v[58:59]
	v_fma_f64 v[38:39], v[6:7], s[20:21], v[66:67]
	v_fma_f64 v[98:99], v[34:35], 2.0, -v[2:3]
	v_fma_f64 v[6:7], v[54:55], s[20:21], v[18:19]
	v_add_f64_e32 v[2:3], v[92:93], v[2:3]
	v_fma_f64 v[117:118], v[0:1], s[20:21], v[68:69]
	v_fma_f64 v[68:69], v[48:49], 2.0, -v[92:93]
	v_fma_f64 v[48:49], v[64:65], 2.0, -v[58:59]
	v_fma_f64 v[34:35], v[54:55], s[20:21], v[72:73]
	v_fma_f64 v[72:73], v[80:81], s[18:19], v[62:63]
	v_add_f64_e64 v[54:55], v[16:17], -v[82:83]
	v_fma_f64 v[58:59], v[90:91], 2.0, -v[96:97]
	v_fma_f64 v[90:91], v[76:77], 2.0, -v[56:57]
	;; [unrolled: 1-line block ×4, first 2 shown]
	v_add_f64_e64 v[62:63], v[94:95], -v[98:99]
	v_fma_f64 v[76:77], v[14:15], s[18:19], v[6:7]
	v_mul_f64_e32 v[98:99], s[18:19], v[0:1]
	v_fma_f64 v[14:15], v[92:93], 2.0, -v[2:3]
	v_fma_f64 v[6:7], v[86:87], 2.0, -v[117:118]
	v_add_f64_e64 v[78:79], v[68:69], -v[48:49]
	s_wait_alu 0xfffe
	v_fma_f64 v[48:49], v[38:39], s[8:9], v[56:57]
	v_fma_f64 v[64:65], v[88:89], 2.0, -v[34:35]
	v_fma_f64 v[80:81], v[10:11], 2.0, -v[72:73]
	v_fma_f64 v[10:11], v[120:121], s[18:19], v[96:97]
	v_fma_f64 v[16:17], v[16:17], 2.0, -v[54:55]
	v_fma_f64 v[88:89], v[8:9], s[20:21], v[58:59]
	v_fma_f64 v[92:93], v[66:67], s[14:15], v[90:91]
	v_fma_f64 v[86:87], v[94:95], 2.0, -v[62:63]
	v_fma_f64 v[94:95], v[34:35], s[6:7], v[117:118]
	v_fma_f64 v[82:83], v[18:19], 2.0, -v[76:77]
	v_add_f64_e64 v[122:123], v[54:55], -v[78:79]
	v_fma_f64 v[48:49], v[72:73], s[14:15], v[48:49]
	v_fma_f64 v[18:19], v[64:65], s[12:13], v[6:7]
	;; [unrolled: 1-line block ×5, first 2 shown]
	v_add_f64_e64 v[130:131], v[16:17], -v[86:87]
	v_fma_f64 v[128:129], v[76:77], s[12:13], v[94:95]
	v_mul_f64_e32 v[94:95], s[18:19], v[84:85]
	v_mul_f64_e32 v[92:93], s[18:19], v[12:13]
	;; [unrolled: 1-line block ×5, first 2 shown]
	v_fma_f64 v[54:55], v[54:55], 2.0, -v[122:123]
	v_fma_f64 v[56:57], v[56:57], 2.0, -v[48:49]
	v_fma_f64 v[18:19], v[82:83], s[14:15], v[18:19]
	v_fma_f64 v[132:133], v[96:97], 2.0, -v[10:11]
	v_mul_f64_e32 v[96:97], s[18:19], v[4:5]
	v_fma_f64 v[58:59], v[58:59], 2.0, -v[124:125]
	v_fma_f64 v[134:135], v[90:91], 2.0, -v[126:127]
	;; [unrolled: 1-line block ×4, first 2 shown]
	v_lshl_add_u32 v118, v52, 3, 0
	v_mul_f64_e32 v[90:91], s[18:19], v[2:3]
	v_add_nc_u32_e32 v117, 0xc00, v112
	s_delay_alu instid0(VALU_DEP_3)
	v_add_nc_u32_e32 v119, 0x400, v118
	v_fma_f64 v[6:7], v[6:7], 2.0, -v[18:19]
	ds_store_2addr_b64 v119, v[10:11], v[48:49] offset0:124 offset1:142
	ds_store_2addr_b64 v118, v[132:133], v[56:57] offset0:108 offset1:126
	;; [unrolled: 1-line block ×7, first 2 shown]
	ds_store_2addr_b64 v118, v[16:17], v[6:7] offset1:18
	global_wb scope:SCOPE_SE
	s_wait_dscnt 0x0
	s_barrier_signal -1
	s_barrier_wait -1
	global_inv scope:SCOPE_SE
	ds_load_2addr_b64 v[16:19], v60 offset0:32 offset1:86
	ds_load_2addr_b64 v[8:11], v117 offset0:120 offset1:192
	ds_load_b64 v[52:53], v113
	ds_load_2addr_b64 v[0:3], v116 offset0:118 offset1:172
	ds_load_2addr_b64 v[4:7], v60 offset0:140 offset1:194
	;; [unrolled: 1-line block ×3, first 2 shown]
	ds_load_b64 v[60:61], v112
	ds_load_b64 v[56:57], v105
	;; [unrolled: 1-line block ×4, first 2 shown]
	s_and_saveexec_b32 s1, s0
	s_cbranch_execz .LBB0_29
; %bb.28:
	ds_load_b64 v[40:41], v112 offset:4464
	ds_load_b64 v[48:49], v104 offset:2160
	;; [unrolled: 1-line block ×3, first 2 shown]
.LBB0_29:
	s_wait_alu 0xfffe
	s_or_b32 exec_lo, exec_lo, s1
	v_mul_f64_e32 v[20:21], v[20:21], v[26:27]
	v_fma_f64 v[22:23], v[36:37], 2.0, -v[22:23]
	v_fma_f64 v[30:31], v[30:31], 2.0, -v[70:71]
	;; [unrolled: 1-line block ×3, first 2 shown]
	global_wb scope:SCOPE_SE
	s_wait_dscnt 0x0
	s_barrier_signal -1
	s_barrier_wait -1
	global_inv scope:SCOPE_SE
	v_fma_f64 v[20:21], v[28:29], v[24:25], v[20:21]
	s_delay_alu instid0(VALU_DEP_1) | instskip(NEXT) | instid1(VALU_DEP_1)
	v_add_f64_e64 v[20:21], v[50:51], -v[20:21]
	v_add_f64_e32 v[24:25], v[20:21], v[32:33]
	v_fma_f64 v[26:27], v[50:51], 2.0, -v[20:21]
	s_delay_alu instid0(VALU_DEP_2) | instskip(NEXT) | instid1(VALU_DEP_2)
	v_fma_f64 v[20:21], v[20:21], 2.0, -v[24:25]
	v_add_f64_e64 v[22:23], v[26:27], -v[22:23]
	v_add_f64_e32 v[28:29], v[24:25], v[96:97]
	s_delay_alu instid0(VALU_DEP_3) | instskip(NEXT) | instid1(VALU_DEP_3)
	v_add_f64_e64 v[32:33], v[20:21], -v[98:99]
	v_add_f64_e32 v[36:37], v[22:23], v[74:75]
	s_delay_alu instid0(VALU_DEP_3) | instskip(SKIP_1) | instid1(VALU_DEP_4)
	v_add_f64_e32 v[28:29], v[94:95], v[28:29]
	v_fma_f64 v[26:27], v[26:27], 2.0, -v[22:23]
	v_add_f64_e32 v[32:33], v[92:93], v[32:33]
	s_delay_alu instid0(VALU_DEP_4) | instskip(NEXT) | instid1(VALU_DEP_4)
	v_fma_f64 v[22:23], v[22:23], 2.0, -v[36:37]
	v_fma_f64 v[24:25], v[24:25], 2.0, -v[28:29]
	s_delay_alu instid0(VALU_DEP_4)
	v_add_f64_e64 v[30:31], v[26:27], -v[30:31]
	v_add_f64_e32 v[50:51], v[36:37], v[90:91]
	v_fma_f64 v[70:71], v[72:73], s[8:9], v[28:29]
	v_fma_f64 v[20:21], v[20:21], 2.0, -v[32:33]
	v_add_f64_e64 v[72:73], v[22:23], -v[88:89]
	v_fma_f64 v[74:75], v[80:81], s[14:15], v[24:25]
	v_fma_f64 v[76:77], v[76:77], s[6:7], v[32:33]
	v_fma_f64 v[26:27], v[26:27], 2.0, -v[30:31]
	v_add_f64_e32 v[80:81], v[86:87], v[50:51]
	v_fma_f64 v[50:51], v[38:39], s[6:7], v[70:71]
	v_add_f64_e32 v[38:39], v[30:31], v[62:63]
	v_add_nc_u32_e32 v70, 0x800, v112
	v_add_nc_u32_e32 v71, 0x1000, v112
	v_fma_f64 v[78:79], v[82:83], s[12:13], v[20:21]
	v_add_f64_e32 v[62:63], v[84:85], v[72:73]
	v_fma_f64 v[66:67], v[66:67], s[8:9], v[74:75]
	v_fma_f64 v[34:35], v[34:35], s[8:9], v[76:77]
	v_add_f64_e64 v[68:69], v[26:27], -v[68:69]
	v_fma_f64 v[36:37], v[36:37], 2.0, -v[80:81]
	v_fma_f64 v[28:29], v[28:29], 2.0, -v[50:51]
	;; [unrolled: 1-line block ×3, first 2 shown]
	v_add_nc_u32_e32 v72, 0x1400, v112
	v_fma_f64 v[64:65], v[64:65], s[6:7], v[78:79]
	v_fma_f64 v[22:23], v[22:23], 2.0, -v[62:63]
	v_fma_f64 v[24:25], v[24:25], 2.0, -v[66:67]
	;; [unrolled: 1-line block ×5, first 2 shown]
	ds_store_2addr_b64 v119, v[80:81], v[50:51] offset0:124 offset1:142
	ds_store_2addr_b64 v118, v[36:37], v[28:29] offset0:108 offset1:126
	;; [unrolled: 1-line block ×7, first 2 shown]
	ds_store_2addr_b64 v118, v[26:27], v[20:21] offset1:18
	global_wb scope:SCOPE_SE
	s_wait_dscnt 0x0
	s_barrier_signal -1
	s_barrier_wait -1
	global_inv scope:SCOPE_SE
	ds_load_2addr_b64 v[20:23], v70 offset0:32 offset1:86
	ds_load_2addr_b64 v[24:27], v117 offset0:120 offset1:192
	ds_load_b64 v[64:65], v113
	ds_load_2addr_b64 v[28:31], v71 offset0:118 offset1:172
	ds_load_2addr_b64 v[32:35], v70 offset0:140 offset1:194
	;; [unrolled: 1-line block ×3, first 2 shown]
	ds_load_b64 v[66:67], v112
	ds_load_b64 v[68:69], v105
	;; [unrolled: 1-line block ×4, first 2 shown]
	s_and_saveexec_b32 s1, s0
	s_cbranch_execz .LBB0_31
; %bb.30:
	ds_load_b64 v[44:45], v112 offset:4464
	ds_load_b64 v[50:51], v104 offset:2160
	;; [unrolled: 1-line block ×3, first 2 shown]
.LBB0_31:
	s_wait_alu 0xfffe
	s_or_b32 exec_lo, exec_lo, s1
	s_and_saveexec_b32 s1, vcc_lo
	s_cbranch_execz .LBB0_34
; %bb.32:
	v_dual_mov_b32 v63, 0 :: v_dual_lshlrev_b32 v62, 1, v111
	s_mov_b32 s7, 0xbfebb67a
	s_delay_alu instid0(VALU_DEP_1) | instskip(SKIP_1) | instid1(VALU_DEP_1)
	v_lshlrev_b64_e32 v[74:75], 4, v[62:63]
	v_lshlrev_b32_e32 v62, 1, v109
	v_lshlrev_b64_e32 v[76:77], 4, v[62:63]
	v_lshlrev_b32_e32 v62, 1, v108
	s_delay_alu instid0(VALU_DEP_4) | instskip(SKIP_2) | instid1(VALU_DEP_3)
	v_add_co_u32 v74, vcc_lo, s4, v74
	s_wait_alu 0xfffd
	v_add_co_ci_u32_e32 v75, vcc_lo, s5, v75, vcc_lo
	v_lshlrev_b64_e32 v[78:79], 4, v[62:63]
	v_lshlrev_b32_e32 v62, 1, v107
	v_add_co_u32 v89, vcc_lo, s4, v76
	s_wait_alu 0xfffd
	v_add_co_ci_u32_e32 v90, vcc_lo, s5, v77, vcc_lo
	s_delay_alu instid0(VALU_DEP_3)
	v_lshlrev_b64_e32 v[93:94], 4, v[62:63]
	v_lshlrev_b32_e32 v62, 1, v106
	v_add_co_u32 v97, vcc_lo, s4, v78
	s_wait_alu 0xfffd
	v_add_co_ci_u32_e32 v98, vcc_lo, s5, v79, vcc_lo
	s_clause 0x3
	global_load_b128 v[77:80], v[74:75], off offset:4576
	global_load_b128 v[81:84], v[74:75], off offset:4560
	;; [unrolled: 1-line block ×4, first 2 shown]
	v_lshlrev_b64_e32 v[74:75], 4, v[62:63]
	v_add_co_u32 v104, vcc_lo, s4, v93
	s_wait_alu 0xfffd
	v_add_co_ci_u32_e32 v105, vcc_lo, s5, v94, vcc_lo
	v_mul_lo_u32 v62, s3, v102
	s_delay_alu instid0(VALU_DEP_4)
	v_add_co_u32 v74, vcc_lo, s4, v74
	s_wait_alu 0xfffd
	v_add_co_ci_u32_e32 v75, vcc_lo, s5, v75, vcc_lo
	s_clause 0x5
	global_load_b128 v[93:96], v[97:98], off offset:4560
	global_load_b128 v[111:114], v[97:98], off offset:4576
	;; [unrolled: 1-line block ×6, first 2 shown]
	v_mul_hi_u32 v97, 0x38e38e39, v106
	v_mul_lo_u32 v76, s2, v103
	v_mad_co_u64_u32 v[74:75], null, s2, v102, 0
	v_add_nc_u32_e32 v102, 54, v106
	v_add_nc_u32_e32 v104, 0xa2, v106
	s_mov_b32 s2, 0xe8584caa
	s_mov_b32 s3, 0x3febb67a
	v_lshrrev_b32_e32 v109, 6, v97
	v_lshlrev_b64_e32 v[97:98], 4, v[100:101]
	v_add3_u32 v75, v75, v76, v62
	v_mul_hi_u32 v99, 0x38e38e39, v102
	v_mul_hi_u32 v108, 0x38e38e39, v104
	v_mul_u32_u24_e32 v76, 0x120, v109
	s_wait_alu 0xfffe
	s_mov_b32 s6, s2
	v_lshlrev_b64_e32 v[74:75], 4, v[74:75]
	s_delay_alu instid0(VALU_DEP_2) | instskip(SKIP_2) | instid1(VALU_DEP_4)
	v_sub_nc_u32_e32 v76, v106, v76
	v_lshrrev_b32_e32 v109, 6, v99
	v_lshrrev_b32_e32 v108, 6, v108
	v_add_co_u32 v74, vcc_lo, s10, v74
	s_wait_alu 0xfffd
	v_add_co_ci_u32_e32 v75, vcc_lo, s11, v75, vcc_lo
	v_add_nc_u32_e32 v152, 0x120, v76
	s_delay_alu instid0(VALU_DEP_3) | instskip(SKIP_1) | instid1(VALU_DEP_3)
	v_add_co_u32 v74, vcc_lo, v74, v97
	s_wait_alu 0xfffd
	v_add_co_ci_u32_e32 v75, vcc_lo, v75, v98, vcc_lo
	s_delay_alu instid0(VALU_DEP_3) | instskip(SKIP_4) | instid1(VALU_DEP_4)
	v_mad_co_u64_u32 v[97:98], null, s16, v152, 0
	v_add_nc_u32_e32 v105, 0xd8, v106
	v_mad_co_u64_u32 v[99:100], null, s16, v76, 0
	v_add_nc_u32_e32 v103, 0x6c, v106
	v_mul_u32_u24_e32 v101, 0x120, v109
	v_mul_hi_u32 v62, 0x38e38e39, v105
	v_mul_u32_u24_e32 v132, 0x120, v108
	v_add_nc_u32_e32 v154, 0x240, v76
	s_delay_alu instid0(VALU_DEP_4) | instskip(NEXT) | instid1(VALU_DEP_3)
	v_sub_nc_u32_e32 v134, v102, v101
	v_sub_nc_u32_e32 v104, v104, v132
	s_delay_alu instid0(VALU_DEP_3) | instskip(SKIP_1) | instid1(VALU_DEP_4)
	v_mad_co_u64_u32 v[101:102], null, s16, v154, 0
	v_lshrrev_b32_e32 v62, 6, v62
	v_mad_u32_u24 v109, 0x360, v109, v134
	s_delay_alu instid0(VALU_DEP_4) | instskip(NEXT) | instid1(VALU_DEP_3)
	v_mad_u32_u24 v156, 0x360, v108, v104
	v_mul_u32_u24_e32 v133, 0x120, v62
	s_delay_alu instid0(VALU_DEP_3) | instskip(SKIP_1) | instid1(VALU_DEP_4)
	v_add_nc_u32_e32 v159, 0x240, v109
	v_add_nc_u32_e32 v158, 0x120, v109
	;; [unrolled: 1-line block ×3, first 2 shown]
	s_delay_alu instid0(VALU_DEP_4) | instskip(NEXT) | instid1(VALU_DEP_2)
	v_sub_nc_u32_e32 v105, v105, v133
	v_mad_co_u64_u32 v[144:145], null, s16, v162, 0
	s_delay_alu instid0(VALU_DEP_2) | instskip(SKIP_2) | instid1(VALU_DEP_3)
	v_mad_u32_u24 v157, 0x360, v62, v105
	v_mov_b32_e32 v62, v100
	v_mul_hi_u32 v107, 0x38e38e39, v103
	v_mad_co_u64_u32 v[133:134], null, s16, v157, 0
	s_delay_alu instid0(VALU_DEP_3) | instskip(SKIP_1) | instid1(VALU_DEP_4)
	v_mad_co_u64_u32 v[135:136], null, s17, v76, v[62:63]
	v_mov_b32_e32 v62, v98
	v_lshrrev_b32_e32 v107, 6, v107
	v_mov_b32_e32 v76, v102
	v_add_nc_u32_e32 v164, 0x120, v157
	v_mad_co_u64_u32 v[138:139], null, s16, v159, 0
	s_delay_alu instid0(VALU_DEP_4) | instskip(SKIP_2) | instid1(VALU_DEP_3)
	v_mul_u32_u24_e32 v131, 0x120, v107
	v_mad_co_u64_u32 v[136:137], null, s16, v158, 0
	v_mad_co_u64_u32 v[152:153], null, s17, v152, v[62:63]
	v_sub_nc_u32_e32 v103, v103, v131
	v_mad_co_u64_u32 v[131:132], null, s16, v156, 0
	v_mad_co_u64_u32 v[148:149], null, s16, v164, 0
	s_delay_alu instid0(VALU_DEP_3) | instskip(SKIP_1) | instid1(VALU_DEP_4)
	v_mad_u32_u24 v155, 0x360, v107, v103
	v_mad_co_u64_u32 v[103:104], null, s16, v109, 0
	v_dual_mov_b32 v98, v132 :: v_dual_add_nc_u32 v179, 0x240, v157
	s_delay_alu instid0(VALU_DEP_3) | instskip(SKIP_1) | instid1(VALU_DEP_4)
	v_mad_co_u64_u32 v[107:108], null, s16, v155, 0
	v_add_nc_u32_e32 v160, 0x120, v155
	v_dual_mov_b32 v62, v104 :: v_dual_add_nc_u32 v161, 0x240, v155
	v_dual_mov_b32 v102, v134 :: v_dual_add_nc_u32 v163, 0x240, v156
	s_delay_alu instid0(VALU_DEP_3) | instskip(NEXT) | instid1(VALU_DEP_3)
	v_mad_co_u64_u32 v[140:141], null, s16, v160, 0
	v_mad_co_u64_u32 v[142:143], null, s16, v161, 0
	s_delay_alu instid0(VALU_DEP_4)
	v_mad_co_u64_u32 v[104:105], null, s17, v109, v[62:63]
	v_dual_mov_b32 v105, v139 :: v_dual_mov_b32 v62, v137
	v_mov_b32_e32 v100, v135
	v_mad_co_u64_u32 v[134:135], null, s17, v156, v[98:99]
	v_dual_mov_b32 v132, v145 :: v_dual_mov_b32 v137, v149
	v_mov_b32_e32 v98, v152
	v_mad_co_u64_u32 v[150:151], null, s16, v179, 0
	v_lshlrev_b64_e32 v[99:100], 4, v[99:100]
	s_delay_alu instid0(VALU_DEP_3) | instskip(NEXT) | instid1(VALU_DEP_2)
	v_lshlrev_b64_e32 v[97:98], 4, v[97:98]
	v_add_co_u32 v99, vcc_lo, v74, v99
	s_wait_alu 0xfffd
	s_delay_alu instid0(VALU_DEP_3)
	v_add_co_ci_u32_e32 v100, vcc_lo, v75, v100, vcc_lo
	s_wait_loadcnt 0x9
	v_mad_co_u64_u32 v[153:154], null, s17, v154, v[76:77]
	v_mov_b32_e32 v76, v108
	v_mad_co_u64_u32 v[146:147], null, s16, v163, 0
	s_wait_loadcnt 0x7
	v_mul_f64_e32 v[165:166], v[12:13], v[87:88]
	s_wait_dscnt 0x4
	v_mul_f64_e32 v[87:88], v[36:37], v[87:88]
	v_mad_co_u64_u32 v[108:109], null, s17, v155, v[76:77]
	v_dual_mov_b32 v76, v141 :: v_dual_mov_b32 v109, v143
	v_mad_co_u64_u32 v[154:155], null, s17, v157, v[102:103]
	v_mov_b32_e32 v135, v147
	v_mad_co_u64_u32 v[155:156], null, s17, v159, v[105:106]
	s_delay_alu instid0(VALU_DEP_4)
	v_mad_co_u64_u32 v[156:157], null, s17, v160, v[76:77]
	v_mov_b32_e32 v102, v153
	v_mad_co_u64_u32 v[152:153], null, s17, v158, v[62:63]
	v_mad_co_u64_u32 v[157:158], null, s17, v161, v[109:110]
	;; [unrolled: 1-line block ×5, first 2 shown]
	v_mov_b32_e32 v132, v134
	v_mov_b32_e32 v134, v154
	v_mul_f64_e32 v[153:154], v[8:9], v[83:84]
	v_mul_f64_e32 v[161:162], v[14:15], v[79:80]
	s_wait_loadcnt 0x3
	v_mul_f64_e32 v[171:172], v[22:23], v[117:118]
	v_mul_f64_e32 v[117:118], v[18:19], v[117:118]
	s_wait_loadcnt 0x1
	v_mul_f64_e32 v[175:176], v[16:17], v[125:126]
	s_wait_loadcnt 0x0
	v_mul_f64_e32 v[177:178], v[10:11], v[129:130]
	v_mul_f64_e32 v[125:126], v[20:21], v[125:126]
	;; [unrolled: 1-line block ×13, first 2 shown]
	v_fma_f64 v[36:37], v[36:37], v[85:86], v[165:166]
	v_fma_f64 v[12:13], v[12:13], v[85:86], -v[87:88]
	v_lshlrev_b64_e32 v[101:102], 4, v[101:102]
	v_mov_b32_e32 v62, v151
	v_lshlrev_b64_e32 v[103:104], 4, v[103:104]
	v_mov_b32_e32 v137, v152
	v_mov_b32_e32 v139, v155
	;; [unrolled: 1-line block ×3, first 2 shown]
	v_mad_co_u64_u32 v[151:152], null, s17, v179, v[62:63]
	v_mov_b32_e32 v147, v159
	v_mov_b32_e32 v149, v160
	v_mov_b32_e32 v145, v158
	v_mov_b32_e32 v143, v157
	v_lshlrev_b64_e32 v[85:86], 4, v[138:139]
	v_lshlrev_b64_e32 v[87:88], 4, v[140:141]
	v_add_nc_u32_e32 v76, 0x10e, v106
	v_fma_f64 v[24:25], v[24:25], v[81:82], v[153:154]
	v_fma_f64 v[38:39], v[38:39], v[77:78], v[161:162]
	v_fma_f64 v[18:19], v[18:19], v[115:116], -v[171:172]
	v_fma_f64 v[22:23], v[22:23], v[115:116], v[117:118]
	v_fma_f64 v[20:21], v[20:21], v[123:124], v[175:176]
	;; [unrolled: 1-line block ×3, first 2 shown]
	v_fma_f64 v[16:17], v[16:17], v[123:124], -v[125:126]
	v_fma_f64 v[115:116], v[10:11], v[127:128], -v[129:130]
	v_fma_f64 v[34:35], v[34:35], v[89:90], v[163:164]
	v_fma_f64 v[32:33], v[32:33], v[93:94], v[167:168]
	;; [unrolled: 1-line block ×4, first 2 shown]
	v_fma_f64 v[117:118], v[0:1], v[119:120], -v[121:122]
	v_fma_f64 v[10:11], v[14:15], v[77:78], -v[79:80]
	v_fma_f64 v[4:5], v[4:5], v[93:94], -v[95:96]
	v_fma_f64 v[14:15], v[2:3], v[111:112], -v[113:114]
	v_fma_f64 v[2:3], v[6:7], v[89:90], -v[91:92]
	v_fma_f64 v[8:9], v[8:9], v[81:82], -v[83:84]
	v_add_co_u32 v81, s1, v74, v97
	s_wait_alu 0xf1ff
	v_add_co_ci_u32_e64 v82, s1, v75, v98, s1
	v_add_co_u32 v83, s1, v74, v101
	v_lshlrev_b64_e32 v[0:1], 4, v[107:108]
	s_wait_alu 0xf1ff
	v_add_co_ci_u32_e64 v84, s1, v75, v102, s1
	v_lshlrev_b64_e32 v[6:7], 4, v[131:132]
	v_add_co_u32 v103, s1, v74, v103
	s_wait_alu 0xf1ff
	v_add_co_ci_u32_e64 v104, s1, v75, v104, s1
	v_add_co_u32 v131, s1, v74, v0
	v_lshlrev_b64_e32 v[93:94], 4, v[146:147]
	v_lshlrev_b64_e32 v[97:98], 4, v[148:149]
	;; [unrolled: 1-line block ×3, first 2 shown]
	s_wait_alu 0xf1ff
	v_add_co_ci_u32_e64 v132, s1, v75, v1, s1
	v_add_f64_e32 v[95:96], v[24:25], v[38:39]
	v_lshlrev_b64_e32 v[77:78], 4, v[133:134]
	v_add_co_u32 v133, s1, v74, v6
	v_add_f64_e32 v[113:114], v[20:21], v[26:27]
	s_wait_dscnt 0x3
	v_add_f64_e32 v[151:152], v[66:67], v[20:21]
	v_add_f64_e32 v[121:122], v[16:17], v[115:116]
	;; [unrolled: 1-line block ×7, first 2 shown]
	v_add_f64_e64 v[147:148], v[18:19], -v[117:118]
	v_add_f64_e32 v[18:19], v[52:53], v[18:19]
	v_add_f64_e32 v[125:126], v[4:5], v[14:15]
	;; [unrolled: 1-line block ×5, first 2 shown]
	s_wait_dscnt 0x0
	v_add_f64_e32 v[0:1], v[72:73], v[24:25]
	v_add_f64_e64 v[20:21], v[20:21], -v[26:27]
	v_lshlrev_b64_e32 v[79:80], 4, v[136:137]
	v_lshlrev_b64_e32 v[91:92], 4, v[144:145]
	s_wait_alu 0xf1ff
	v_add_co_ci_u32_e64 v134, s1, v75, v7, s1
	v_add_f64_e64 v[135:136], v[8:9], -v[10:11]
	v_add_f64_e32 v[6:7], v[58:59], v[8:9]
	v_add_f64_e32 v[8:9], v[70:71], v[34:35]
	;; [unrolled: 1-line block ×4, first 2 shown]
	v_lshlrev_b64_e32 v[89:90], 4, v[142:143]
	v_add_f64_e32 v[143:144], v[68:69], v[32:33]
	v_add_f64_e64 v[141:142], v[4:5], -v[14:15]
	v_add_f64_e64 v[32:33], v[32:33], -v[30:31]
	;; [unrolled: 1-line block ×4, first 2 shown]
	v_cmp_gt_u32_e32 vcc_lo, 0x120, v76
	v_fma_f64 v[72:73], v[95:96], -0.5, v[72:73]
	v_add_f64_e64 v[95:96], v[16:17], -v[115:116]
	v_fma_f64 v[66:67], v[113:114], -0.5, v[66:67]
	v_fma_f64 v[60:61], v[121:122], -0.5, v[60:61]
	;; [unrolled: 1-line block ×3, first 2 shown]
	v_add_f64_e64 v[70:71], v[22:23], -v[28:29]
	v_fma_f64 v[68:69], v[107:108], -0.5, v[68:69]
	v_fma_f64 v[64:65], v[111:112], -0.5, v[64:65]
	;; [unrolled: 1-line block ×3, first 2 shown]
	v_add_f64_e64 v[111:112], v[34:35], -v[36:37]
	v_add_f64_e32 v[16:17], v[153:154], v[115:116]
	v_fma_f64 v[113:114], v[125:126], -0.5, v[56:57]
	v_fma_f64 v[123:124], v[129:130], -0.5, v[54:55]
	;; [unrolled: 1-line block ×3, first 2 shown]
	v_add_f64_e32 v[4:5], v[139:140], v[12:13]
	v_add_f64_e32 v[12:13], v[18:19], v[117:118]
	;; [unrolled: 1-line block ×4, first 2 shown]
	v_add_co_u32 v125, s1, v74, v77
	s_wait_alu 0xf1ff
	v_add_co_ci_u32_e64 v126, s1, v75, v78, s1
	v_add_f64_e32 v[0:1], v[6:7], v[10:11]
	v_add_f64_e32 v[6:7], v[8:9], v[36:37]
	;; [unrolled: 1-line block ×4, first 2 shown]
	v_add_co_u32 v127, s1, v74, v79
	v_add_f64_e32 v[10:11], v[143:144], v[30:31]
	s_wait_alu 0xf1ff
	v_add_co_ci_u32_e64 v128, s1, v75, v80, s1
	v_add_co_u32 v85, s1, v74, v85
	s_wait_alu 0xf1ff
	v_add_co_ci_u32_e64 v86, s1, v75, v86, s1
	s_wait_alu 0xfffe
	v_fma_f64 v[26:27], v[135:136], s[6:7], v[72:73]
	v_fma_f64 v[22:23], v[135:136], s[2:3], v[72:73]
	;; [unrolled: 1-line block ×20, first 2 shown]
	v_add_co_u32 v60, s1, v74, v87
	s_wait_alu 0xf1ff
	v_add_co_ci_u32_e64 v61, s1, v75, v88, s1
	v_add_co_u32 v72, s1, v74, v89
	s_wait_alu 0xf1ff
	v_add_co_ci_u32_e64 v73, s1, v75, v90, s1
	;; [unrolled: 3-line block ×6, first 2 shown]
	s_clause 0xe
	global_store_b128 v[99:100], v[16:19], off
	global_store_b128 v[81:82], v[56:59], off
	;; [unrolled: 1-line block ×15, first 2 shown]
	s_and_b32 exec_lo, exec_lo, vcc_lo
	s_cbranch_execz .LBB0_34
; %bb.33:
	v_subrev_nc_u32_e32 v0, 18, v106
	v_add_nc_u32_e32 v30, 0x22e, v106
	v_mad_co_u64_u32 v[24:25], null, s16, v76, 0
	s_delay_alu instid0(VALU_DEP_3) | instskip(NEXT) | instid1(VALU_DEP_3)
	v_cndmask_b32_e64 v0, v0, v110, s0
	v_mad_co_u64_u32 v[26:27], null, s16, v30, 0
	v_add_nc_u32_e32 v31, 0x34e, v106
	s_delay_alu instid0(VALU_DEP_1) | instskip(NEXT) | instid1(VALU_DEP_4)
	v_mad_co_u64_u32 v[28:29], null, s16, v31, 0
	v_lshlrev_b32_e32 v62, 1, v0
	s_delay_alu instid0(VALU_DEP_1) | instskip(NEXT) | instid1(VALU_DEP_1)
	v_lshlrev_b64_e32 v[0:1], 4, v[62:63]
	v_add_co_u32 v4, vcc_lo, s4, v0
	s_wait_alu 0xfffd
	s_delay_alu instid0(VALU_DEP_2)
	v_add_co_ci_u32_e32 v5, vcc_lo, s5, v1, vcc_lo
	s_clause 0x1
	global_load_b128 v[0:3], v[4:5], off offset:4560
	global_load_b128 v[4:7], v[4:5], off offset:4576
	s_wait_loadcnt 0x1
	v_mul_f64_e32 v[8:9], v[44:45], v[2:3]
	s_wait_loadcnt 0x0
	v_mul_f64_e32 v[10:11], v[46:47], v[6:7]
	v_mul_f64_e32 v[2:3], v[40:41], v[2:3]
	;; [unrolled: 1-line block ×3, first 2 shown]
	s_delay_alu instid0(VALU_DEP_4) | instskip(NEXT) | instid1(VALU_DEP_4)
	v_fma_f64 v[8:9], v[40:41], v[0:1], -v[8:9]
	v_fma_f64 v[10:11], v[42:43], v[4:5], -v[10:11]
	s_delay_alu instid0(VALU_DEP_4) | instskip(NEXT) | instid1(VALU_DEP_4)
	v_fma_f64 v[0:1], v[44:45], v[0:1], v[2:3]
	v_fma_f64 v[2:3], v[46:47], v[4:5], v[6:7]
	s_delay_alu instid0(VALU_DEP_4) | instskip(NEXT) | instid1(VALU_DEP_4)
	v_add_f64_e32 v[12:13], v[48:49], v[8:9]
	v_add_f64_e32 v[4:5], v[8:9], v[10:11]
	s_delay_alu instid0(VALU_DEP_4) | instskip(NEXT) | instid1(VALU_DEP_4)
	v_add_f64_e32 v[16:17], v[50:51], v[0:1]
	v_add_f64_e32 v[6:7], v[0:1], v[2:3]
	v_add_f64_e64 v[14:15], v[0:1], -v[2:3]
	v_add_f64_e64 v[20:21], v[8:9], -v[10:11]
	v_add_f64_e32 v[0:1], v[12:13], v[10:11]
	v_mov_b32_e32 v13, v29
	v_fma_f64 v[18:19], v[4:5], -0.5, v[48:49]
	v_fma_f64 v[22:23], v[6:7], -0.5, v[50:51]
	v_add_f64_e32 v[2:3], v[16:17], v[2:3]
	v_mov_b32_e32 v12, v27
	s_delay_alu instid0(VALU_DEP_4) | instskip(NEXT) | instid1(VALU_DEP_4)
	v_fma_f64 v[4:5], v[14:15], s[2:3], v[18:19]
	v_fma_f64 v[6:7], v[20:21], s[6:7], v[22:23]
	v_fma_f64 v[8:9], v[14:15], s[6:7], v[18:19]
	v_fma_f64 v[10:11], v[20:21], s[2:3], v[22:23]
	v_mad_co_u64_u32 v[14:15], null, s17, v76, v[25:26]
	s_delay_alu instid0(VALU_DEP_1) | instskip(SKIP_2) | instid1(VALU_DEP_2)
	v_mov_b32_e32 v25, v14
	v_mad_co_u64_u32 v[15:16], null, s17, v30, v[12:13]
	v_mad_co_u64_u32 v[12:13], null, s17, v31, v[13:14]
	v_mov_b32_e32 v27, v15
	s_delay_alu instid0(VALU_DEP_2) | instskip(SKIP_1) | instid1(VALU_DEP_3)
	v_mov_b32_e32 v29, v12
	v_lshlrev_b64_e32 v[12:13], 4, v[24:25]
	v_lshlrev_b64_e32 v[14:15], 4, v[26:27]
	s_delay_alu instid0(VALU_DEP_3) | instskip(NEXT) | instid1(VALU_DEP_3)
	v_lshlrev_b64_e32 v[16:17], 4, v[28:29]
	v_add_co_u32 v12, vcc_lo, v74, v12
	s_wait_alu 0xfffd
	s_delay_alu instid0(VALU_DEP_4) | instskip(NEXT) | instid1(VALU_DEP_4)
	v_add_co_ci_u32_e32 v13, vcc_lo, v75, v13, vcc_lo
	v_add_co_u32 v14, vcc_lo, v74, v14
	s_wait_alu 0xfffd
	v_add_co_ci_u32_e32 v15, vcc_lo, v75, v15, vcc_lo
	v_add_co_u32 v16, vcc_lo, v74, v16
	s_wait_alu 0xfffd
	v_add_co_ci_u32_e32 v17, vcc_lo, v75, v17, vcc_lo
	s_clause 0x2
	global_store_b128 v[12:13], v[0:3], off
	global_store_b128 v[14:15], v[4:7], off
	;; [unrolled: 1-line block ×3, first 2 shown]
.LBB0_34:
	s_nop 0
	s_sendmsg sendmsg(MSG_DEALLOC_VGPRS)
	s_endpgm
	.section	.rodata,"a",@progbits
	.p2align	6, 0x0
	.amdhsa_kernel fft_rtc_fwd_len864_factors_3_6_16_3_wgs_54_tpt_54_halfLds_dp_op_CI_CI_sbrr_dirReg
		.amdhsa_group_segment_fixed_size 0
		.amdhsa_private_segment_fixed_size 0
		.amdhsa_kernarg_size 104
		.amdhsa_user_sgpr_count 2
		.amdhsa_user_sgpr_dispatch_ptr 0
		.amdhsa_user_sgpr_queue_ptr 0
		.amdhsa_user_sgpr_kernarg_segment_ptr 1
		.amdhsa_user_sgpr_dispatch_id 0
		.amdhsa_user_sgpr_private_segment_size 0
		.amdhsa_wavefront_size32 1
		.amdhsa_uses_dynamic_stack 0
		.amdhsa_enable_private_segment 0
		.amdhsa_system_sgpr_workgroup_id_x 1
		.amdhsa_system_sgpr_workgroup_id_y 0
		.amdhsa_system_sgpr_workgroup_id_z 0
		.amdhsa_system_sgpr_workgroup_info 0
		.amdhsa_system_vgpr_workitem_id 0
		.amdhsa_next_free_vgpr 183
		.amdhsa_next_free_sgpr 43
		.amdhsa_reserve_vcc 1
		.amdhsa_float_round_mode_32 0
		.amdhsa_float_round_mode_16_64 0
		.amdhsa_float_denorm_mode_32 3
		.amdhsa_float_denorm_mode_16_64 3
		.amdhsa_fp16_overflow 0
		.amdhsa_workgroup_processor_mode 1
		.amdhsa_memory_ordered 1
		.amdhsa_forward_progress 0
		.amdhsa_round_robin_scheduling 0
		.amdhsa_exception_fp_ieee_invalid_op 0
		.amdhsa_exception_fp_denorm_src 0
		.amdhsa_exception_fp_ieee_div_zero 0
		.amdhsa_exception_fp_ieee_overflow 0
		.amdhsa_exception_fp_ieee_underflow 0
		.amdhsa_exception_fp_ieee_inexact 0
		.amdhsa_exception_int_div_zero 0
	.end_amdhsa_kernel
	.text
.Lfunc_end0:
	.size	fft_rtc_fwd_len864_factors_3_6_16_3_wgs_54_tpt_54_halfLds_dp_op_CI_CI_sbrr_dirReg, .Lfunc_end0-fft_rtc_fwd_len864_factors_3_6_16_3_wgs_54_tpt_54_halfLds_dp_op_CI_CI_sbrr_dirReg
                                        ; -- End function
	.section	.AMDGPU.csdata,"",@progbits
; Kernel info:
; codeLenInByte = 11864
; NumSgprs: 45
; NumVgprs: 183
; ScratchSize: 0
; MemoryBound: 1
; FloatMode: 240
; IeeeMode: 1
; LDSByteSize: 0 bytes/workgroup (compile time only)
; SGPRBlocks: 5
; VGPRBlocks: 22
; NumSGPRsForWavesPerEU: 45
; NumVGPRsForWavesPerEU: 183
; Occupancy: 8
; WaveLimiterHint : 1
; COMPUTE_PGM_RSRC2:SCRATCH_EN: 0
; COMPUTE_PGM_RSRC2:USER_SGPR: 2
; COMPUTE_PGM_RSRC2:TRAP_HANDLER: 0
; COMPUTE_PGM_RSRC2:TGID_X_EN: 1
; COMPUTE_PGM_RSRC2:TGID_Y_EN: 0
; COMPUTE_PGM_RSRC2:TGID_Z_EN: 0
; COMPUTE_PGM_RSRC2:TIDIG_COMP_CNT: 0
	.text
	.p2alignl 7, 3214868480
	.fill 96, 4, 3214868480
	.type	__hip_cuid_59fe92adb0146e46,@object ; @__hip_cuid_59fe92adb0146e46
	.section	.bss,"aw",@nobits
	.globl	__hip_cuid_59fe92adb0146e46
__hip_cuid_59fe92adb0146e46:
	.byte	0                               ; 0x0
	.size	__hip_cuid_59fe92adb0146e46, 1

	.ident	"AMD clang version 19.0.0git (https://github.com/RadeonOpenCompute/llvm-project roc-6.4.0 25133 c7fe45cf4b819c5991fe208aaa96edf142730f1d)"
	.section	".note.GNU-stack","",@progbits
	.addrsig
	.addrsig_sym __hip_cuid_59fe92adb0146e46
	.amdgpu_metadata
---
amdhsa.kernels:
  - .args:
      - .actual_access:  read_only
        .address_space:  global
        .offset:         0
        .size:           8
        .value_kind:     global_buffer
      - .offset:         8
        .size:           8
        .value_kind:     by_value
      - .actual_access:  read_only
        .address_space:  global
        .offset:         16
        .size:           8
        .value_kind:     global_buffer
      - .actual_access:  read_only
        .address_space:  global
        .offset:         24
        .size:           8
        .value_kind:     global_buffer
      - .actual_access:  read_only
        .address_space:  global
        .offset:         32
        .size:           8
        .value_kind:     global_buffer
      - .offset:         40
        .size:           8
        .value_kind:     by_value
      - .actual_access:  read_only
        .address_space:  global
        .offset:         48
        .size:           8
        .value_kind:     global_buffer
      - .actual_access:  read_only
        .address_space:  global
        .offset:         56
        .size:           8
        .value_kind:     global_buffer
      - .offset:         64
        .size:           4
        .value_kind:     by_value
      - .actual_access:  read_only
        .address_space:  global
        .offset:         72
        .size:           8
        .value_kind:     global_buffer
      - .actual_access:  read_only
        .address_space:  global
        .offset:         80
        .size:           8
        .value_kind:     global_buffer
      - .actual_access:  read_only
        .address_space:  global
        .offset:         88
        .size:           8
        .value_kind:     global_buffer
      - .actual_access:  write_only
        .address_space:  global
        .offset:         96
        .size:           8
        .value_kind:     global_buffer
    .group_segment_fixed_size: 0
    .kernarg_segment_align: 8
    .kernarg_segment_size: 104
    .language:       OpenCL C
    .language_version:
      - 2
      - 0
    .max_flat_workgroup_size: 54
    .name:           fft_rtc_fwd_len864_factors_3_6_16_3_wgs_54_tpt_54_halfLds_dp_op_CI_CI_sbrr_dirReg
    .private_segment_fixed_size: 0
    .sgpr_count:     45
    .sgpr_spill_count: 0
    .symbol:         fft_rtc_fwd_len864_factors_3_6_16_3_wgs_54_tpt_54_halfLds_dp_op_CI_CI_sbrr_dirReg.kd
    .uniform_work_group_size: 1
    .uses_dynamic_stack: false
    .vgpr_count:     183
    .vgpr_spill_count: 0
    .wavefront_size: 32
    .workgroup_processor_mode: 1
amdhsa.target:   amdgcn-amd-amdhsa--gfx1201
amdhsa.version:
  - 1
  - 2
...

	.end_amdgpu_metadata
